;; amdgpu-corpus repo=ROCm/rocFFT kind=compiled arch=gfx950 opt=O3
	.text
	.amdgcn_target "amdgcn-amd-amdhsa--gfx950"
	.amdhsa_code_object_version 6
	.protected	bluestein_single_back_len143_dim1_dp_op_CI_CI ; -- Begin function bluestein_single_back_len143_dim1_dp_op_CI_CI
	.globl	bluestein_single_back_len143_dim1_dp_op_CI_CI
	.p2align	8
	.type	bluestein_single_back_len143_dim1_dp_op_CI_CI,@function
bluestein_single_back_len143_dim1_dp_op_CI_CI: ; @bluestein_single_back_len143_dim1_dp_op_CI_CI
; %bb.0:
	s_load_dwordx4 s[8:11], s[0:1], 0x28
	v_mul_u32_u24_e32 v1, 0x13b2, v0
	v_lshrrev_b32_e32 v2, 16, v1
	v_mad_u64_u32 v[120:121], s[2:3], s2, 14, v[2:3]
	v_mov_b32_e32 v121, 0
	s_waitcnt lgkmcnt(0)
	v_cmp_gt_u64_e32 vcc, s[8:9], v[120:121]
	s_and_saveexec_b64 s[2:3], vcc
	s_cbranch_execz .LBB0_15
; %bb.1:
	v_mul_lo_u16_e32 v1, 13, v2
	v_sub_u16_e32 v178, v0, v1
	v_lshrrev_b32_e32 v0, 1, v120
	s_mov_b32 s2, 0x92492493
	v_mul_hi_u32 v0, v0, s2
	s_load_dwordx2 s[8:9], s[0:1], 0x0
	s_load_dwordx2 s[12:13], s[0:1], 0x38
	v_lshrrev_b32_e32 v0, 2, v0
	v_mul_lo_u32 v0, v0, 14
	v_sub_u32_e32 v0, v120, v0
	v_mul_u32_u24_e32 v181, 0x8f, v0
	v_cmp_gt_u16_e32 vcc, 11, v178
	v_lshlrev_b32_e32 v121, 4, v178
	v_lshlrev_b32_e32 v179, 4, v181
	s_and_saveexec_b64 s[2:3], vcc
	s_cbranch_execz .LBB0_3
; %bb.2:
	s_load_dwordx2 s[4:5], s[0:1], 0x18
	v_mov_b32_e32 v0, s10
	v_mov_b32_e32 v1, s11
	;; [unrolled: 1-line block ×3, first 2 shown]
	v_lshl_add_u32 v108, v178, 4, v179
	s_waitcnt lgkmcnt(0)
	s_load_dwordx4 s[4:7], s[4:5], 0x0
	v_add_u32_e32 v109, v179, v121
	s_waitcnt lgkmcnt(0)
	v_mad_u64_u32 v[2:3], s[10:11], s6, v120, 0
	v_mad_u64_u32 v[4:5], s[10:11], s4, v178, 0
	v_mov_b32_e32 v6, v3
	v_mov_b32_e32 v8, v5
	v_mad_u64_u32 v[6:7], s[6:7], s7, v120, v[6:7]
	v_mov_b32_e32 v3, v6
	v_mad_u64_u32 v[6:7], s[6:7], s5, v178, v[8:9]
	v_mov_b32_e32 v5, v6
	v_lshl_add_u64 v[0:1], v[2:3], 4, v[0:1]
	v_lshl_add_u64 v[8:9], v[4:5], 4, v[0:1]
	v_mad_u64_u32 v[16:17], s[6:7], s4, v98, v[8:9]
	s_mulk_i32 s5, 0xb0
	global_load_dwordx4 v[0:3], v[8:9], off
	global_load_dwordx4 v[4:7], v121, s[8:9]
	v_add_u32_e32 v17, s5, v17
	global_load_dwordx4 v[8:11], v121, s[8:9] offset:176
	global_load_dwordx4 v[12:15], v[16:17], off
	v_mad_u64_u32 v[24:25], s[6:7], s4, v98, v[16:17]
	v_add_u32_e32 v25, s5, v25
	global_load_dwordx4 v[16:19], v[24:25], off
	global_load_dwordx4 v[20:23], v121, s[8:9] offset:352
	v_mad_u64_u32 v[32:33], s[6:7], s4, v98, v[24:25]
	v_add_u32_e32 v33, s5, v33
	global_load_dwordx4 v[24:27], v121, s[8:9] offset:528
	global_load_dwordx4 v[28:31], v[32:33], off
	v_mad_u64_u32 v[40:41], s[6:7], s4, v98, v[32:33]
	v_add_u32_e32 v41, s5, v41
	global_load_dwordx4 v[32:35], v[40:41], off
	global_load_dwordx4 v[36:39], v121, s[8:9] offset:704
	v_mad_u64_u32 v[48:49], s[6:7], s4, v98, v[40:41]
	v_add_u32_e32 v49, s5, v49
	global_load_dwordx4 v[40:43], v[48:49], off
	global_load_dwordx4 v[44:47], v121, s[8:9] offset:880
	;; [unrolled: 4-line block ×8, first 2 shown]
	v_mad_u64_u32 v[104:105], s[6:7], s4, v98, v[96:97]
	v_add_u32_e32 v105, s5, v105
	global_load_dwordx4 v[96:99], v121, s[8:9] offset:2112
	global_load_dwordx4 v[100:103], v[104:105], off
	s_waitcnt vmcnt(24)
	v_mul_f64 v[104:105], v[2:3], v[6:7]
	v_mul_f64 v[6:7], v[0:1], v[6:7]
	v_fmac_f64_e32 v[104:105], v[0:1], v[4:5]
	v_fma_f64 v[106:107], v[2:3], v[4:5], -v[6:7]
	s_waitcnt vmcnt(22)
	v_mul_f64 v[0:1], v[14:15], v[10:11]
	v_mul_f64 v[2:3], v[12:13], v[10:11]
	v_fmac_f64_e32 v[0:1], v[12:13], v[8:9]
	v_fma_f64 v[2:3], v[14:15], v[8:9], -v[2:3]
	ds_write_b128 v108, v[104:107]
	ds_write_b128 v109, v[0:3] offset:176
	s_waitcnt vmcnt(20)
	v_mul_f64 v[0:1], v[18:19], v[22:23]
	v_mul_f64 v[2:3], v[16:17], v[22:23]
	v_fmac_f64_e32 v[0:1], v[16:17], v[20:21]
	v_fma_f64 v[2:3], v[18:19], v[20:21], -v[2:3]
	ds_write_b128 v109, v[0:3] offset:352
	s_waitcnt vmcnt(18)
	v_mul_f64 v[0:1], v[30:31], v[26:27]
	v_mul_f64 v[2:3], v[28:29], v[26:27]
	v_fmac_f64_e32 v[0:1], v[28:29], v[24:25]
	v_fma_f64 v[2:3], v[30:31], v[24:25], -v[2:3]
	;; [unrolled: 6-line block ×11, first 2 shown]
	ds_write_b128 v109, v[0:3] offset:2112
.LBB0_3:
	s_or_b64 exec, exec, s[2:3]
	s_load_dwordx2 s[2:3], s[0:1], 0x20
	s_load_dwordx2 s[4:5], s[0:1], 0x8
	s_waitcnt lgkmcnt(0)
	s_barrier
	s_waitcnt lgkmcnt(0)
                                        ; implicit-def: $vgpr8_vgpr9
                                        ; implicit-def: $vgpr12_vgpr13
                                        ; implicit-def: $vgpr16_vgpr17
                                        ; implicit-def: $vgpr20_vgpr21
                                        ; implicit-def: $vgpr24_vgpr25
                                        ; implicit-def: $vgpr28_vgpr29
                                        ; implicit-def: $vgpr32_vgpr33
                                        ; implicit-def: $vgpr36_vgpr37
                                        ; implicit-def: $vgpr40_vgpr41
                                        ; implicit-def: $vgpr44_vgpr45
                                        ; implicit-def: $vgpr48_vgpr49
                                        ; implicit-def: $vgpr52_vgpr53
                                        ; implicit-def: $vgpr56_vgpr57
	s_and_saveexec_b64 s[0:1], vcc
	s_cbranch_execz .LBB0_5
; %bb.4:
	v_lshl_add_u32 v0, v181, 4, v121
	ds_read_b128 v[8:11], v0
	ds_read_b128 v[12:15], v0 offset:176
	ds_read_b128 v[16:19], v0 offset:352
	;; [unrolled: 1-line block ×12, first 2 shown]
.LBB0_5:
	s_or_b64 exec, exec, s[0:1]
	s_mov_b32 s24, 0x4267c47c
	s_waitcnt lgkmcnt(0)
	v_add_f64 v[118:119], v[14:15], -v[58:59]
	s_mov_b32 s0, 0xe00740e9
	s_mov_b32 s25, 0xbfddbe06
	;; [unrolled: 1-line block ×3, first 2 shown]
	v_add_f64 v[84:85], v[12:13], v[56:57]
	v_add_f64 v[106:107], v[12:13], -v[56:57]
	s_mov_b32 s1, 0x3fec55a7
	v_mul_f64 v[80:81], v[118:119], s[24:25]
	s_mov_b32 s6, 0x1ea71119
	s_mov_b32 s23, 0xbfea55e2
	v_add_f64 v[138:139], v[18:19], -v[54:55]
	v_add_f64 v[86:87], v[14:15], v[58:59]
	v_mul_f64 v[82:83], v[106:107], s[24:25]
	v_fma_f64 v[0:1], s[0:1], v[84:85], v[80:81]
	s_mov_b32 s7, 0x3fe22d96
	v_add_f64 v[92:93], v[16:17], v[52:53]
	v_add_f64 v[126:127], v[16:17], -v[52:53]
	v_mul_f64 v[88:89], v[138:139], s[22:23]
	s_mov_b32 s26, 0x66966769
	v_add_f64 v[0:1], v[8:9], v[0:1]
	v_fma_f64 v[2:3], v[86:87], s[0:1], -v[82:83]
	v_add_f64 v[94:95], v[18:19], v[54:55]
	v_mul_f64 v[90:91], v[126:127], s[22:23]
	v_fma_f64 v[4:5], s[6:7], v[92:93], v[88:89]
	v_add_f64 v[144:145], v[22:23], -v[50:51]
	s_mov_b32 s16, 0xebaa3ed8
	s_mov_b32 s27, 0xbfefc445
	v_add_f64 v[2:3], v[10:11], v[2:3]
	v_add_f64 v[0:1], v[4:5], v[0:1]
	v_fma_f64 v[4:5], v[94:95], s[6:7], -v[90:91]
	s_mov_b32 s30, 0x2ef20147
	v_add_f64 v[100:101], v[20:21], v[48:49]
	v_add_f64 v[136:137], v[20:21], -v[48:49]
	s_mov_b32 s17, 0x3fbedb7d
	v_mul_f64 v[96:97], v[144:145], s[26:27]
	v_add_f64 v[2:3], v[4:5], v[2:3]
	s_mov_b32 s10, 0xb2365da1
	s_mov_b32 s31, 0xbfedeba7
	v_add_f64 v[102:103], v[22:23], v[50:51]
	v_mul_f64 v[98:99], v[136:137], s[26:27]
	v_fma_f64 v[4:5], s[16:17], v[100:101], v[96:97]
	v_add_f64 v[154:155], v[26:27], -v[46:47]
	s_mov_b32 s11, 0xbfd6b1d8
	v_add_f64 v[0:1], v[4:5], v[0:1]
	v_fma_f64 v[4:5], v[102:103], s[16:17], -v[98:99]
	v_add_f64 v[110:111], v[24:25], v[44:45]
	v_add_f64 v[148:149], v[24:25], -v[44:45]
	v_mul_f64 v[104:105], v[154:155], s[30:31]
	s_mov_b32 s34, 0x24c2f84
	v_add_f64 v[2:3], v[4:5], v[2:3]
	v_add_f64 v[112:113], v[26:27], v[46:47]
	v_mul_f64 v[108:109], v[148:149], s[30:31]
	v_fma_f64 v[4:5], s[10:11], v[110:111], v[104:105]
	s_mov_b32 s20, 0xd0032e0c
	s_mov_b32 s35, 0x3fe5384d
	v_add_f64 v[168:169], v[30:31], -v[42:43]
	s_mov_b32 s37, 0xbfe5384d
	s_mov_b32 s36, s34
	;; [unrolled: 1-line block ×3, first 2 shown]
	v_add_f64 v[0:1], v[4:5], v[0:1]
	v_fma_f64 v[4:5], v[112:113], s[10:11], -v[108:109]
	s_mov_b32 s21, 0xbfe7f3cc
	v_add_f64 v[122:123], v[28:29], v[40:41]
	v_add_f64 v[160:161], v[28:29], -v[40:41]
	v_mul_f64 v[114:115], v[168:169], s[36:37]
	s_mov_b32 s18, 0x93053d00
	s_mov_b32 s29, 0xbfcea1e5
	v_add_f64 v[2:3], v[4:5], v[2:3]
	v_add_f64 v[124:125], v[30:31], v[42:43]
	v_mul_f64 v[116:117], v[160:161], s[36:37]
	v_fma_f64 v[4:5], s[20:21], v[122:123], v[114:115]
	v_add_f64 v[174:175], v[34:35], -v[38:39]
	s_mov_b32 s19, 0xbfef11f4
	v_add_f64 v[0:1], v[4:5], v[0:1]
	v_fma_f64 v[4:5], v[124:125], s[20:21], -v[116:117]
	v_add_f64 v[130:131], v[32:33], v[36:37]
	v_mul_f64 v[128:129], v[174:175], s[28:29]
	v_add_f64 v[172:173], v[32:33], -v[36:37]
	v_add_f64 v[2:3], v[4:5], v[2:3]
	v_fma_f64 v[4:5], s[18:19], v[130:131], v[128:129]
	v_add_f64 v[134:135], v[34:35], v[38:39]
	v_mul_f64 v[132:133], v[172:173], s[28:29]
	v_add_f64 v[0:1], v[4:5], v[0:1]
	v_fma_f64 v[4:5], v[134:135], s[18:19], -v[132:133]
	v_mul_f64 v[140:141], v[118:119], s[22:23]
	v_add_f64 v[2:3], v[4:5], v[2:3]
	v_fma_f64 v[4:5], s[6:7], v[84:85], v[140:141]
	v_mul_f64 v[142:143], v[138:139], s[30:31]
	v_add_f64 v[4:5], v[8:9], v[4:5]
	v_fma_f64 v[6:7], s[10:11], v[92:93], v[142:143]
	v_mul_f64 v[152:153], v[106:107], s[22:23]
	v_add_f64 v[4:5], v[6:7], v[4:5]
	v_fma_f64 v[6:7], v[86:87], s[6:7], -v[152:153]
	v_mul_f64 v[158:159], v[126:127], s[30:31]
	v_add_f64 v[6:7], v[10:11], v[6:7]
	v_fma_f64 v[60:61], v[94:95], s[10:11], -v[158:159]
	v_mul_f64 v[146:147], v[144:145], s[28:29]
	v_add_f64 v[6:7], v[60:61], v[6:7]
	v_fma_f64 v[60:61], s[18:19], v[100:101], v[146:147]
	v_mul_f64 v[162:163], v[136:137], s[28:29]
	v_add_f64 v[4:5], v[60:61], v[4:5]
	v_fma_f64 v[60:61], v[102:103], s[18:19], -v[162:163]
	v_mul_f64 v[150:151], v[154:155], s[34:35]
	v_add_f64 v[6:7], v[60:61], v[6:7]
	v_fma_f64 v[60:61], s[20:21], v[110:111], v[150:151]
	v_mul_f64 v[166:167], v[148:149], s[34:35]
	s_mov_b32 s41, 0x3fefc445
	s_mov_b32 s40, s26
	v_add_f64 v[4:5], v[60:61], v[4:5]
	v_fma_f64 v[60:61], v[112:113], s[20:21], -v[166:167]
	v_mul_f64 v[156:157], v[168:169], s[40:41]
	v_add_f64 v[6:7], v[60:61], v[6:7]
	v_fma_f64 v[60:61], s[16:17], v[122:123], v[156:157]
	v_mul_f64 v[170:171], v[160:161], s[40:41]
	s_mov_b32 s39, 0x3fddbe06
	s_mov_b32 s38, s24
	v_add_f64 v[4:5], v[60:61], v[4:5]
	v_fma_f64 v[60:61], v[124:125], s[16:17], -v[170:171]
	v_mul_f64 v[164:165], v[174:175], s[38:39]
	v_add_f64 v[6:7], v[60:61], v[6:7]
	v_fma_f64 v[60:61], s[0:1], v[130:131], v[164:165]
	v_mul_f64 v[176:177], v[172:173], s[38:39]
	v_add_f64 v[4:5], v[60:61], v[4:5]
	v_fma_f64 v[60:61], v[134:135], s[0:1], -v[176:177]
	v_add_f64 v[6:7], v[60:61], v[6:7]
	v_mul_lo_u16_e32 v180, 13, v178
	s_barrier
	s_and_saveexec_b64 s[14:15], vcc
	s_cbranch_execz .LBB0_7
; %bb.6:
	s_mov_b32 s45, 0x3fcea1e5
	s_mov_b32 s44, s28
	v_mul_f64 v[64:65], v[86:87], s[18:19]
	v_fma_f64 v[60:61], s[44:45], v[106:107], v[64:65]
	v_mul_f64 v[66:67], v[94:95], s[0:1]
	v_add_f64 v[60:61], v[10:11], v[60:61]
	v_fma_f64 v[62:63], s[24:25], v[126:127], v[66:67]
	v_mul_f64 v[68:69], v[102:103], s[20:21]
	v_add_f64 v[60:61], v[62:63], v[60:61]
	;; [unrolled: 3-line block ×3, first 2 shown]
	v_fma_f64 v[62:63], s[22:23], v[148:149], v[70:71]
	s_mov_b32 s43, 0x3fedeba7
	s_mov_b32 s42, s30
	v_mul_f64 v[72:73], v[124:125], s[10:11]
	v_add_f64 v[60:61], v[62:63], v[60:61]
	v_fma_f64 v[62:63], s[42:43], v[160:161], v[72:73]
	v_mul_f64 v[74:75], v[118:119], s[28:29]
	v_add_f64 v[60:61], v[62:63], v[60:61]
	v_fma_f64 v[62:63], s[18:19], v[84:85], v[74:75]
	v_mul_f64 v[76:77], v[138:139], s[38:39]
	v_add_f64 v[62:63], v[8:9], v[62:63]
	v_fma_f64 v[78:79], s[0:1], v[92:93], v[76:77]
	v_fmac_f64_e32 v[64:65], s[28:29], v[106:107]
	v_add_f64 v[62:63], v[78:79], v[62:63]
	v_mul_f64 v[78:79], v[144:145], s[36:37]
	v_fmac_f64_e32 v[66:67], s[38:39], v[126:127]
	v_add_f64 v[64:65], v[10:11], v[64:65]
	v_fma_f64 v[182:183], s[20:21], v[100:101], v[78:79]
	s_mov_b32 s47, 0x3fea55e2
	s_mov_b32 s46, s22
	v_add_f64 v[64:65], v[66:67], v[64:65]
	v_fmac_f64_e32 v[68:69], s[36:37], v[136:137]
	v_add_f64 v[62:63], v[182:183], v[62:63]
	v_mul_f64 v[182:183], v[154:155], s[46:47]
	v_add_f64 v[64:65], v[68:69], v[64:65]
	v_fma_f64 v[68:69], v[84:85], s[18:19], -v[74:75]
	v_fma_f64 v[184:185], s[6:7], v[110:111], v[182:183]
	v_fma_f64 v[66:67], v[92:93], s[0:1], -v[76:77]
	v_add_f64 v[68:69], v[8:9], v[68:69]
	v_add_f64 v[62:63], v[184:185], v[62:63]
	v_mul_f64 v[184:185], v[168:169], s[30:31]
	v_fmac_f64_e32 v[70:71], s[46:47], v[148:149]
	v_add_f64 v[66:67], v[66:67], v[68:69]
	v_fma_f64 v[68:69], v[100:101], s[20:21], -v[78:79]
	v_fma_f64 v[186:187], s[10:11], v[122:123], v[184:185]
	v_mul_f64 v[188:189], v[134:135], s[16:17]
	v_add_f64 v[64:65], v[70:71], v[64:65]
	v_fmac_f64_e32 v[72:73], s[30:31], v[160:161]
	v_add_f64 v[66:67], v[68:69], v[66:67]
	v_fma_f64 v[68:69], v[110:111], s[6:7], -v[182:183]
	v_add_f64 v[186:187], v[186:187], v[62:63]
	v_fma_f64 v[62:63], s[26:27], v[172:173], v[188:189]
	v_mul_f64 v[190:191], v[174:175], s[40:41]
	v_add_f64 v[64:65], v[72:73], v[64:65]
	v_add_f64 v[66:67], v[68:69], v[66:67]
	v_fma_f64 v[68:69], v[122:123], s[10:11], -v[184:185]
	v_fmac_f64_e32 v[188:189], s[40:41], v[172:173]
	v_add_f64 v[68:69], v[68:69], v[66:67]
	v_add_f64 v[66:67], v[188:189], v[64:65]
	v_fma_f64 v[64:65], v[130:131], s[16:17], -v[190:191]
	v_mul_f64 v[72:73], v[86:87], s[20:21]
	v_add_f64 v[64:65], v[64:65], v[68:69]
	v_fma_f64 v[68:69], s[34:35], v[106:107], v[72:73]
	v_mul_f64 v[74:75], v[94:95], s[16:17]
	v_add_f64 v[68:69], v[10:11], v[68:69]
	v_fma_f64 v[70:71], s[26:27], v[126:127], v[74:75]
	v_mul_f64 v[76:77], v[102:103], s[6:7]
	v_add_f64 v[68:69], v[70:71], v[68:69]
	v_fma_f64 v[70:71], s[46:47], v[136:137], v[76:77]
	v_mul_f64 v[78:79], v[112:113], s[18:19]
	v_add_f64 v[68:69], v[70:71], v[68:69]
	v_fma_f64 v[70:71], s[28:29], v[148:149], v[78:79]
	v_mul_f64 v[182:183], v[124:125], s[0:1]
	v_add_f64 v[62:63], v[62:63], v[60:61]
	v_fma_f64 v[60:61], s[16:17], v[130:131], v[190:191]
	v_add_f64 v[68:69], v[70:71], v[68:69]
	v_fma_f64 v[70:71], s[24:25], v[160:161], v[182:183]
	v_mul_f64 v[184:185], v[118:119], s[36:37]
	v_add_f64 v[60:61], v[60:61], v[186:187]
	v_add_f64 v[68:69], v[70:71], v[68:69]
	v_fma_f64 v[70:71], s[20:21], v[84:85], v[184:185]
	v_mul_f64 v[186:187], v[138:139], s[40:41]
	v_add_f64 v[70:71], v[8:9], v[70:71]
	v_fma_f64 v[188:189], s[16:17], v[92:93], v[186:187]
	v_fmac_f64_e32 v[72:73], s[36:37], v[106:107]
	v_add_f64 v[70:71], v[188:189], v[70:71]
	v_mul_f64 v[188:189], v[144:145], s[22:23]
	v_fmac_f64_e32 v[74:75], s[40:41], v[126:127]
	v_add_f64 v[72:73], v[10:11], v[72:73]
	v_fma_f64 v[190:191], s[6:7], v[100:101], v[188:189]
	v_add_f64 v[72:73], v[74:75], v[72:73]
	v_fmac_f64_e32 v[76:77], s[22:23], v[136:137]
	v_add_f64 v[70:71], v[190:191], v[70:71]
	v_mul_f64 v[190:191], v[154:155], s[44:45]
	v_add_f64 v[72:73], v[76:77], v[72:73]
	v_fma_f64 v[76:77], v[84:85], s[20:21], -v[184:185]
	v_fma_f64 v[192:193], s[18:19], v[110:111], v[190:191]
	v_fma_f64 v[74:75], v[92:93], s[16:17], -v[186:187]
	v_add_f64 v[76:77], v[8:9], v[76:77]
	v_add_f64 v[70:71], v[192:193], v[70:71]
	v_mul_f64 v[192:193], v[168:169], s[38:39]
	v_fmac_f64_e32 v[78:79], s[44:45], v[148:149]
	v_add_f64 v[74:75], v[74:75], v[76:77]
	v_fma_f64 v[76:77], v[100:101], s[6:7], -v[188:189]
	v_fma_f64 v[194:195], s[0:1], v[122:123], v[192:193]
	v_mul_f64 v[196:197], v[134:135], s[10:11]
	v_add_f64 v[72:73], v[78:79], v[72:73]
	v_fmac_f64_e32 v[182:183], s[38:39], v[160:161]
	v_add_f64 v[74:75], v[76:77], v[74:75]
	v_fma_f64 v[76:77], v[110:111], s[18:19], -v[190:191]
	v_add_f64 v[194:195], v[194:195], v[70:71]
	v_fma_f64 v[70:71], s[42:43], v[172:173], v[196:197]
	v_mul_f64 v[198:199], v[174:175], s[30:31]
	v_add_f64 v[72:73], v[182:183], v[72:73]
	v_add_f64 v[74:75], v[76:77], v[74:75]
	v_fma_f64 v[76:77], v[122:123], s[0:1], -v[192:193]
	v_fmac_f64_e32 v[196:197], s[30:31], v[172:173]
	v_add_f64 v[76:77], v[76:77], v[74:75]
	v_add_f64 v[74:75], v[196:197], v[72:73]
	v_fma_f64 v[72:73], v[130:131], s[10:11], -v[198:199]
	v_mul_f64 v[182:183], v[86:87], s[10:11]
	v_add_f64 v[72:73], v[72:73], v[76:77]
	v_fma_f64 v[76:77], s[42:43], v[106:107], v[182:183]
	v_mul_f64 v[184:185], v[94:95], s[20:21]
	v_add_f64 v[76:77], v[10:11], v[76:77]
	v_fma_f64 v[78:79], s[36:37], v[126:127], v[184:185]
	;; [unrolled: 3-line block ×5, first 2 shown]
	v_add_f64 v[76:77], v[78:79], v[76:77]
	v_fma_f64 v[78:79], s[28:29], v[160:161], v[190:191]
	v_mul_f64 v[192:193], v[118:119], s[30:31]
	v_add_f64 v[68:69], v[68:69], v[194:195]
	v_add_f64 v[76:77], v[78:79], v[76:77]
	v_fma_f64 v[78:79], s[10:11], v[84:85], v[192:193]
	v_mul_f64 v[194:195], v[138:139], s[34:35]
	v_add_f64 v[78:79], v[8:9], v[78:79]
	v_fma_f64 v[196:197], s[20:21], v[92:93], v[194:195]
	v_fmac_f64_e32 v[182:183], s[30:31], v[106:107]
	v_add_f64 v[78:79], v[196:197], v[78:79]
	v_mul_f64 v[196:197], v[144:145], s[38:39]
	v_fmac_f64_e32 v[184:185], s[34:35], v[126:127]
	v_add_f64 v[182:183], v[10:11], v[182:183]
	v_fma_f64 v[198:199], s[0:1], v[100:101], v[196:197]
	v_add_f64 v[182:183], v[184:185], v[182:183]
	v_fmac_f64_e32 v[186:187], s[38:39], v[136:137]
	v_add_f64 v[78:79], v[198:199], v[78:79]
	v_mul_f64 v[198:199], v[154:155], s[26:27]
	v_add_f64 v[182:183], v[186:187], v[182:183]
	v_fma_f64 v[186:187], v[84:85], s[10:11], -v[192:193]
	v_fma_f64 v[200:201], s[16:17], v[110:111], v[198:199]
	v_fma_f64 v[184:185], v[92:93], s[20:21], -v[194:195]
	v_add_f64 v[186:187], v[8:9], v[186:187]
	v_add_f64 v[78:79], v[200:201], v[78:79]
	v_mul_f64 v[200:201], v[168:169], s[44:45]
	v_fmac_f64_e32 v[188:189], s[26:27], v[148:149]
	v_add_f64 v[184:185], v[184:185], v[186:187]
	v_fma_f64 v[186:187], v[100:101], s[0:1], -v[196:197]
	v_fma_f64 v[202:203], s[18:19], v[122:123], v[200:201]
	v_mul_f64 v[204:205], v[134:135], s[6:7]
	v_add_f64 v[182:183], v[188:189], v[182:183]
	v_fmac_f64_e32 v[190:191], s[44:45], v[160:161]
	v_add_f64 v[184:185], v[186:187], v[184:185]
	v_fma_f64 v[186:187], v[110:111], s[16:17], -v[198:199]
	v_add_f64 v[202:203], v[202:203], v[78:79]
	v_fma_f64 v[78:79], s[22:23], v[172:173], v[204:205]
	v_mul_f64 v[206:207], v[174:175], s[46:47]
	v_add_f64 v[182:183], v[190:191], v[182:183]
	v_add_f64 v[184:185], v[186:187], v[184:185]
	v_fma_f64 v[186:187], v[122:123], s[18:19], -v[200:201]
	v_fmac_f64_e32 v[204:205], s[46:47], v[172:173]
	v_add_f64 v[186:187], v[186:187], v[184:185]
	v_add_f64 v[184:185], v[204:205], v[182:183]
	v_fma_f64 v[182:183], v[130:131], s[6:7], -v[206:207]
	v_mul_f64 v[190:191], v[86:87], s[16:17]
	v_add_f64 v[182:183], v[182:183], v[186:187]
	v_fma_f64 v[186:187], s[40:41], v[106:107], v[190:191]
	v_mul_f64 v[192:193], v[94:95], s[18:19]
	v_add_f64 v[186:187], v[10:11], v[186:187]
	v_fma_f64 v[188:189], s[44:45], v[126:127], v[192:193]
	v_mul_f64 v[194:195], v[102:103], s[10:11]
	v_add_f64 v[186:187], v[188:189], v[186:187]
	v_fma_f64 v[188:189], s[30:31], v[136:137], v[194:195]
	v_mul_f64 v[196:197], v[112:113], s[0:1]
	v_add_f64 v[186:187], v[188:189], v[186:187]
	v_fma_f64 v[188:189], s[24:25], v[148:149], v[196:197]
	v_mul_f64 v[198:199], v[124:125], s[6:7]
	v_add_f64 v[186:187], v[188:189], v[186:187]
	v_fma_f64 v[188:189], s[46:47], v[160:161], v[198:199]
	v_mul_f64 v[118:119], v[118:119], s[26:27]
	v_add_f64 v[186:187], v[188:189], v[186:187]
	v_mul_f64 v[138:139], v[138:139], s[28:29]
	v_fma_f64 v[188:189], s[16:17], v[84:85], v[118:119]
	v_fma_f64 v[118:119], v[84:85], s[16:17], -v[118:119]
	v_add_f64 v[188:189], v[8:9], v[188:189]
	v_fma_f64 v[200:201], s[18:19], v[92:93], v[138:139]
	v_mul_f64 v[144:145], v[144:145], s[42:43]
	v_fmac_f64_e32 v[192:193], s[28:29], v[126:127]
	v_fma_f64 v[126:127], v[92:93], s[18:19], -v[138:139]
	v_add_f64 v[118:119], v[8:9], v[118:119]
	v_add_f64 v[188:189], v[200:201], v[188:189]
	v_fma_f64 v[200:201], s[10:11], v[100:101], v[144:145]
	v_mul_f64 v[154:155], v[154:155], s[38:39]
	v_add_f64 v[118:119], v[126:127], v[118:119]
	v_fma_f64 v[126:127], v[100:101], s[10:11], -v[144:145]
	v_add_f64 v[188:189], v[200:201], v[188:189]
	v_fma_f64 v[200:201], s[0:1], v[110:111], v[154:155]
	v_add_f64 v[118:119], v[126:127], v[118:119]
	v_fma_f64 v[126:127], v[110:111], s[0:1], -v[154:155]
	v_mul_f64 v[154:155], v[86:87], s[6:7]
	v_fmac_f64_e32 v[196:197], s[38:39], v[148:149]
	v_mul_f64 v[148:149], v[94:95], s[10:11]
	v_add_f64 v[152:153], v[152:153], v[154:155]
	v_mul_f64 v[144:145], v[102:103], s[18:19]
	v_add_f64 v[148:149], v[158:159], v[148:149]
	v_add_f64 v[152:153], v[10:11], v[152:153]
	;; [unrolled: 1-line block ×5, first 2 shown]
	v_mul_f64 v[148:149], v[110:111], s[20:21]
	v_add_f64 v[148:149], v[148:149], -v[150:151]
	v_mul_f64 v[150:151], v[100:101], s[18:19]
	v_add_f64 v[146:147], v[150:151], -v[146:147]
	;; [unrolled: 2-line block ×4, first 2 shown]
	v_add_f64 v[140:141], v[8:9], v[140:141]
	v_add_f64 v[140:141], v[142:143], v[140:141]
	v_mul_f64 v[142:143], v[84:85], s[0:1]
	v_mul_f64 v[150:151], v[86:87], s[0:1]
	v_fmac_f64_e32 v[190:191], s[26:27], v[106:107]
	v_add_f64 v[82:83], v[82:83], v[150:151]
	v_add_f64 v[80:81], v[142:143], -v[80:81]
	v_add_f64 v[106:107], v[10:11], v[190:191]
	v_add_f64 v[82:83], v[10:11], v[82:83]
	;; [unrolled: 1-line block ×9, first 2 shown]
	v_fmac_f64_e32 v[194:195], s[42:43], v[136:137]
	v_add_f64 v[106:107], v[192:193], v[106:107]
	v_add_f64 v[10:11], v[10:11], v[26:27]
	;; [unrolled: 1-line block ×4, first 2 shown]
	v_fma_f64 v[76:77], s[6:7], v[130:131], v[206:207]
	v_mul_f64 v[168:169], v[168:169], s[22:23]
	v_add_f64 v[106:107], v[194:195], v[106:107]
	v_add_f64 v[10:11], v[10:11], v[30:31]
	;; [unrolled: 1-line block ×5, first 2 shown]
	v_fma_f64 v[200:201], s[6:7], v[122:123], v[168:169]
	v_mul_f64 v[202:203], v[134:135], s[20:21]
	v_fmac_f64_e32 v[198:199], s[22:23], v[160:161]
	v_add_f64 v[106:107], v[196:197], v[106:107]
	v_add_f64 v[10:11], v[10:11], v[34:35]
	;; [unrolled: 1-line block ×4, first 2 shown]
	v_fma_f64 v[188:189], s[34:35], v[172:173], v[202:203]
	v_mul_f64 v[174:175], v[174:175], s[36:37]
	v_fmac_f64_e32 v[202:203], s[36:37], v[172:173]
	v_add_f64 v[106:107], v[198:199], v[106:107]
	v_add_f64 v[118:119], v[126:127], v[118:119]
	v_fma_f64 v[126:127], v[122:123], s[6:7], -v[168:169]
	v_mul_f64 v[92:93], v[92:93], s[6:7]
	v_mul_f64 v[94:95], v[94:95], s[6:7]
	v_add_f64 v[10:11], v[10:11], v[38:39]
	v_add_f64 v[8:9], v[8:9], v[36:37]
	;; [unrolled: 1-line block ×4, first 2 shown]
	v_fma_f64 v[106:107], v[130:131], s[20:21], -v[174:175]
	v_mul_f64 v[126:127], v[112:113], s[20:21]
	v_mul_f64 v[100:101], v[100:101], s[16:17]
	v_mul_f64 v[102:103], v[102:103], s[16:17]
	v_add_f64 v[90:91], v[90:91], v[94:95]
	v_add_f64 v[88:89], v[92:93], -v[88:89]
	v_add_f64 v[10:11], v[10:11], v[42:43]
	v_add_f64 v[8:9], v[8:9], v[40:41]
	;; [unrolled: 1-line block ×3, first 2 shown]
	v_mul_f64 v[118:119], v[124:125], s[16:17]
	v_add_f64 v[126:127], v[166:167], v[126:127]
	v_mul_f64 v[110:111], v[110:111], s[10:11]
	v_mul_f64 v[112:113], v[112:113], s[10:11]
	v_add_f64 v[98:99], v[98:99], v[102:103]
	v_add_f64 v[82:83], v[90:91], v[82:83]
	v_add_f64 v[96:97], v[100:101], -v[96:97]
	v_add_f64 v[80:81], v[88:89], v[80:81]
	v_add_f64 v[10:11], v[10:11], v[46:47]
	v_add_f64 v[8:9], v[8:9], v[44:45]
	v_mul_f64 v[106:107], v[134:135], s[0:1]
	v_add_f64 v[118:119], v[170:171], v[118:119]
	v_add_f64 v[126:127], v[126:127], v[144:145]
	v_mul_f64 v[144:145], v[122:123], s[16:17]
	v_mul_f64 v[122:123], v[122:123], s[20:21]
	v_mul_f64 v[124:125], v[124:125], s[20:21]
	v_add_f64 v[84:85], v[146:147], v[140:141]
	v_add_f64 v[108:109], v[108:109], v[112:113]
	;; [unrolled: 1-line block ×3, first 2 shown]
	v_add_f64 v[98:99], v[110:111], -v[104:105]
	v_add_f64 v[80:81], v[96:97], v[80:81]
	v_add_f64 v[10:11], v[10:11], v[50:51]
	;; [unrolled: 1-line block ×4, first 2 shown]
	v_fma_f64 v[186:187], s[20:21], v[130:131], v[174:175]
	v_add_f64 v[106:107], v[176:177], v[106:107]
	v_add_f64 v[118:119], v[118:119], v[126:127]
	v_mul_f64 v[126:127], v[130:131], s[0:1]
	v_add_f64 v[144:145], v[144:145], -v[156:157]
	v_mul_f64 v[130:131], v[130:131], s[18:19]
	v_mul_f64 v[134:135], v[134:135], s[18:19]
	v_add_f64 v[84:85], v[148:149], v[84:85]
	v_add_f64 v[116:117], v[116:117], v[124:125]
	;; [unrolled: 1-line block ×3, first 2 shown]
	v_add_f64 v[94:95], v[122:123], -v[114:115]
	v_add_f64 v[80:81], v[98:99], v[80:81]
	v_add_f64 v[10:11], v[10:11], v[54:55]
	;; [unrolled: 1-line block ×3, first 2 shown]
	v_add_f64 v[126:127], v[126:127], -v[164:165]
	v_add_f64 v[86:87], v[106:107], v[118:119]
	v_add_f64 v[84:85], v[144:145], v[84:85]
	;; [unrolled: 1-line block ×4, first 2 shown]
	v_add_f64 v[90:91], v[130:131], -v[128:129]
	v_add_f64 v[80:81], v[94:95], v[80:81]
	v_add_f64 v[10:11], v[10:11], v[58:59]
	;; [unrolled: 1-line block ×3, first 2 shown]
	v_add_lshl_u32 v12, v181, v180, 4
	v_add_f64 v[186:187], v[186:187], v[200:201]
	v_add_f64 v[84:85], v[126:127], v[84:85]
	;; [unrolled: 1-line block ×4, first 2 shown]
	ds_write_b128 v12, v[8:11]
	ds_write_b128 v12, v[80:83] offset:16
	ds_write_b128 v12, v[84:87] offset:32
	;; [unrolled: 1-line block ×12, first 2 shown]
.LBB0_7:
	s_or_b64 exec, exec, s[14:15]
	v_mul_u32_u24_e32 v8, 10, v178
	v_lshlrev_b32_e32 v48, 4, v8
	s_load_dwordx4 s[0:3], s[2:3], 0x0
	s_waitcnt lgkmcnt(0)
	s_barrier
	global_load_dwordx4 v[20:23], v48, s[4:5]
	global_load_dwordx4 v[16:19], v48, s[4:5] offset:16
	global_load_dwordx4 v[12:15], v48, s[4:5] offset:32
	;; [unrolled: 1-line block ×9, first 2 shown]
	v_add_lshl_u32 v171, v181, v178, 4
	ds_read_b128 v[68:71], v171
	ds_read_b128 v[48:51], v171 offset:208
	ds_read_b128 v[56:59], v171 offset:416
	;; [unrolled: 1-line block ×10, first 2 shown]
	s_mov_b32 s10, 0xf8bb580b
	s_mov_b32 s16, 0x43842ef
	;; [unrolled: 1-line block ×26, first 2 shown]
	v_lshl_add_u32 v170, v178, 4, v179
	s_waitcnt vmcnt(9) lgkmcnt(9)
	v_mul_f64 v[100:101], v[50:51], v[22:23]
	v_mul_f64 v[102:103], v[48:49], v[22:23]
	s_waitcnt vmcnt(8) lgkmcnt(8)
	v_mul_f64 v[104:105], v[58:59], v[18:19]
	v_mul_f64 v[106:107], v[56:57], v[18:19]
	;; [unrolled: 3-line block ×3, first 2 shown]
	v_fma_f64 v[48:49], v[48:49], v[20:21], -v[100:101]
	v_fmac_f64_e32 v[102:103], v[50:51], v[20:21]
	v_mul_f64 v[108:109], v[66:67], v[14:15]
	s_waitcnt vmcnt(0) lgkmcnt(0)
	v_mul_f64 v[130:131], v[98:99], v[42:43]
	v_mul_f64 v[110:111], v[64:65], v[14:15]
	;; [unrolled: 1-line block ×4, first 2 shown]
	v_fma_f64 v[100:101], v[56:57], v[16:17], -v[104:105]
	v_fmac_f64_e32 v[106:107], v[58:59], v[16:17]
	v_fma_f64 v[56:57], v[76:77], v[36:37], -v[114:115]
	v_fmac_f64_e32 v[52:53], v[78:79], v[36:37]
	v_fma_f64 v[50:51], v[96:97], v[40:41], -v[130:131]
	v_add_f64 v[76:77], v[68:69], v[48:49]
	v_add_f64 v[78:79], v[70:71], v[102:103]
	v_mul_f64 v[112:113], v[74:75], v[10:11]
	v_mul_f64 v[60:61], v[72:73], v[10:11]
	;; [unrolled: 1-line block ×4, first 2 shown]
	v_fma_f64 v[104:105], v[64:65], v[12:13], -v[108:109]
	v_fmac_f64_e32 v[110:111], v[66:67], v[12:13]
	v_fma_f64 v[58:59], v[80:81], v[32:33], -v[116:117]
	v_fma_f64 v[66:67], v[84:85], v[28:29], -v[118:119]
	v_add_f64 v[80:81], v[48:49], v[50:51]
	v_add_f64 v[84:85], v[48:49], -v[50:51]
	v_add_f64 v[48:49], v[76:77], v[100:101]
	v_add_f64 v[76:77], v[78:79], v[106:107]
	v_fma_f64 v[64:65], v[72:73], v[8:9], -v[112:113]
	v_fmac_f64_e32 v[60:61], v[74:75], v[8:9]
	v_add_f64 v[48:49], v[48:49], v[104:105]
	v_add_f64 v[76:77], v[76:77], v[110:111]
	;; [unrolled: 1-line block ×4, first 2 shown]
	v_fmac_f64_e32 v[54:55], v[82:83], v[32:33]
	v_add_f64 v[48:49], v[48:49], v[56:57]
	v_add_f64 v[76:77], v[76:77], v[52:53]
	v_mul_f64 v[122:123], v[90:91], v[26:27]
	v_mul_f64 v[124:125], v[88:89], v[26:27]
	v_fmac_f64_e32 v[62:63], v[86:87], v[28:29]
	v_add_f64 v[48:49], v[48:49], v[58:59]
	v_add_f64 v[76:77], v[76:77], v[54:55]
	v_mul_f64 v[126:127], v[94:95], v[46:47]
	v_mul_f64 v[128:129], v[92:93], v[46:47]
	;; [unrolled: 1-line block ×3, first 2 shown]
	v_fma_f64 v[72:73], v[88:89], v[24:25], -v[122:123]
	v_fmac_f64_e32 v[124:125], v[90:91], v[24:25]
	v_add_f64 v[48:49], v[48:49], v[66:67]
	v_add_f64 v[76:77], v[76:77], v[62:63]
	v_fma_f64 v[74:75], v[92:93], v[44:45], -v[126:127]
	v_fmac_f64_e32 v[128:129], v[94:95], v[44:45]
	v_fmac_f64_e32 v[132:133], v[98:99], v[40:41]
	v_add_f64 v[48:49], v[48:49], v[72:73]
	v_add_f64 v[76:77], v[76:77], v[124:125]
	v_add_f64 v[86:87], v[102:103], -v[132:133]
	v_add_f64 v[48:49], v[48:49], v[74:75]
	v_add_f64 v[76:77], v[76:77], v[128:129]
	;; [unrolled: 1-line block ×5, first 2 shown]
	v_mul_f64 v[76:77], v[86:87], s[10:11]
	v_mul_f64 v[88:89], v[84:85], s[10:11]
	;; [unrolled: 1-line block ×10, first 2 shown]
	v_fma_f64 v[78:79], v[80:81], s[18:19], -v[76:77]
	v_fma_f64 v[90:91], s[18:19], v[82:83], v[88:89]
	v_fmac_f64_e32 v[76:77], s[18:19], v[80:81]
	v_fma_f64 v[88:89], v[82:83], s[18:19], -v[88:89]
	v_fma_f64 v[94:95], v[80:81], s[4:5], -v[92:93]
	v_fma_f64 v[98:99], s[4:5], v[82:83], v[96:97]
	v_fmac_f64_e32 v[92:93], s[4:5], v[80:81]
	v_fma_f64 v[96:97], v[82:83], s[4:5], -v[96:97]
	;; [unrolled: 4-line block ×5, first 2 shown]
	v_add_f64 v[84:85], v[106:107], -v[128:129]
	v_add_f64 v[78:79], v[68:69], v[78:79]
	v_add_f64 v[90:91], v[70:71], v[90:91]
	;; [unrolled: 1-line block ×21, first 2 shown]
	v_mul_f64 v[86:87], v[84:85], s[14:15]
	v_add_f64 v[74:75], v[100:101], -v[74:75]
	v_fma_f64 v[100:101], v[80:81], s[4:5], -v[86:87]
	v_add_f64 v[82:83], v[106:107], v[128:129]
	v_add_f64 v[78:79], v[100:101], v[78:79]
	v_mul_f64 v[100:101], v[74:75], s[14:15]
	v_fmac_f64_e32 v[86:87], s[4:5], v[80:81]
	v_add_f64 v[76:77], v[86:87], v[76:77]
	v_fma_f64 v[86:87], v[82:83], s[4:5], -v[100:101]
	v_add_f64 v[86:87], v[86:87], v[88:89]
	v_mul_f64 v[88:89], v[84:85], s[22:23]
	v_fma_f64 v[106:107], s[4:5], v[82:83], v[100:101]
	v_fma_f64 v[100:101], v[80:81], s[20:21], -v[88:89]
	v_add_f64 v[94:95], v[100:101], v[94:95]
	v_mul_f64 v[100:101], v[74:75], s[22:23]
	v_fmac_f64_e32 v[88:89], s[20:21], v[80:81]
	v_add_f64 v[88:89], v[88:89], v[92:93]
	v_fma_f64 v[92:93], v[82:83], s[20:21], -v[100:101]
	v_add_f64 v[90:91], v[106:107], v[90:91]
	v_fma_f64 v[106:107], s[20:21], v[82:83], v[100:101]
	v_add_f64 v[92:93], v[92:93], v[96:97]
	v_mul_f64 v[96:97], v[84:85], s[34:35]
	v_add_f64 v[98:99], v[106:107], v[98:99]
	v_fma_f64 v[100:101], v[80:81], s[24:25], -v[96:97]
	v_mul_f64 v[106:107], v[74:75], s[34:35]
	v_fmac_f64_e32 v[96:97], s[24:25], v[80:81]
	v_add_f64 v[100:101], v[100:101], v[108:109]
	v_fma_f64 v[108:109], s[24:25], v[82:83], v[106:107]
	v_add_f64 v[96:97], v[96:97], v[102:103]
	v_fma_f64 v[102:103], v[82:83], s[24:25], -v[106:107]
	v_mul_f64 v[106:107], v[84:85], s[30:31]
	v_add_f64 v[108:109], v[108:109], v[114:115]
	v_add_f64 v[102:103], v[102:103], v[112:113]
	v_fma_f64 v[112:113], v[80:81], s[6:7], -v[106:107]
	v_mul_f64 v[114:115], v[74:75], s[30:31]
	v_add_f64 v[112:113], v[112:113], v[118:119]
	v_fma_f64 v[118:119], s[6:7], v[82:83], v[114:115]
	v_fmac_f64_e32 v[106:107], s[6:7], v[80:81]
	v_fma_f64 v[114:115], v[82:83], s[6:7], -v[114:115]
	v_mul_f64 v[84:85], v[84:85], s[28:29]
	v_mul_f64 v[74:75], v[74:75], s[28:29]
	v_add_f64 v[106:107], v[106:107], v[116:117]
	v_add_f64 v[114:115], v[114:115], v[122:123]
	v_fma_f64 v[116:117], v[80:81], s[18:19], -v[84:85]
	v_fma_f64 v[122:123], s[18:19], v[82:83], v[74:75]
	v_fmac_f64_e32 v[84:85], s[18:19], v[80:81]
	v_fma_f64 v[74:75], v[82:83], s[18:19], -v[74:75]
	v_add_f64 v[82:83], v[110:111], -v[124:125]
	v_add_f64 v[68:69], v[84:85], v[68:69]
	v_add_f64 v[70:71], v[74:75], v[70:71]
	;; [unrolled: 1-line block ×3, first 2 shown]
	v_mul_f64 v[84:85], v[82:83], s[16:17]
	v_add_f64 v[72:73], v[104:105], -v[72:73]
	v_fma_f64 v[104:105], v[74:75], s[6:7], -v[84:85]
	v_add_f64 v[80:81], v[110:111], v[124:125]
	v_add_f64 v[78:79], v[104:105], v[78:79]
	v_mul_f64 v[104:105], v[72:73], s[16:17]
	v_fmac_f64_e32 v[84:85], s[6:7], v[74:75]
	v_add_f64 v[76:77], v[84:85], v[76:77]
	v_fma_f64 v[84:85], v[80:81], s[6:7], -v[104:105]
	v_add_f64 v[84:85], v[84:85], v[86:87]
	v_mul_f64 v[86:87], v[82:83], s[34:35]
	v_fma_f64 v[110:111], s[6:7], v[80:81], v[104:105]
	v_fma_f64 v[104:105], v[74:75], s[24:25], -v[86:87]
	v_add_f64 v[94:95], v[104:105], v[94:95]
	v_mul_f64 v[104:105], v[72:73], s[34:35]
	v_fmac_f64_e32 v[86:87], s[24:25], v[74:75]
	v_add_f64 v[86:87], v[86:87], v[88:89]
	v_fma_f64 v[88:89], v[80:81], s[24:25], -v[104:105]
	s_mov_b32 s15, 0x3fed1bb4
	v_add_f64 v[88:89], v[88:89], v[92:93]
	v_mul_f64 v[92:93], v[82:83], s[14:15]
	v_add_f64 v[90:91], v[110:111], v[90:91]
	v_fma_f64 v[110:111], s[24:25], v[80:81], v[104:105]
	v_fma_f64 v[104:105], v[74:75], s[4:5], -v[92:93]
	v_add_f64 v[100:101], v[104:105], v[100:101]
	v_mul_f64 v[104:105], v[72:73], s[14:15]
	v_fmac_f64_e32 v[92:93], s[4:5], v[74:75]
	v_add_f64 v[92:93], v[92:93], v[96:97]
	v_fma_f64 v[96:97], v[80:81], s[4:5], -v[104:105]
	v_add_f64 v[98:99], v[110:111], v[98:99]
	v_fma_f64 v[110:111], s[4:5], v[80:81], v[104:105]
	v_add_f64 v[96:97], v[96:97], v[102:103]
	v_mul_f64 v[102:103], v[82:83], s[10:11]
	v_add_f64 v[108:109], v[110:111], v[108:109]
	v_fma_f64 v[104:105], v[74:75], s[18:19], -v[102:103]
	v_mul_f64 v[110:111], v[72:73], s[10:11]
	v_fmac_f64_e32 v[102:103], s[18:19], v[74:75]
	v_add_f64 v[102:103], v[102:103], v[106:107]
	v_fma_f64 v[106:107], v[80:81], s[18:19], -v[110:111]
	v_mul_f64 v[82:83], v[82:83], s[22:23]
	v_mul_f64 v[72:73], v[72:73], s[22:23]
	v_add_f64 v[104:105], v[104:105], v[112:113]
	v_fma_f64 v[112:113], s[18:19], v[80:81], v[110:111]
	v_add_f64 v[106:107], v[106:107], v[114:115]
	v_fma_f64 v[110:111], v[74:75], s[20:21], -v[82:83]
	v_fma_f64 v[114:115], s[20:21], v[80:81], v[72:73]
	v_fmac_f64_e32 v[82:83], s[20:21], v[74:75]
	v_fma_f64 v[72:73], v[80:81], s[20:21], -v[72:73]
	v_add_f64 v[74:75], v[60:61], v[62:63]
	v_add_f64 v[60:61], v[60:61], -v[62:63]
	v_add_f64 v[70:71], v[72:73], v[70:71]
	v_add_f64 v[72:73], v[64:65], v[66:67]
	v_mul_f64 v[62:63], v[60:61], s[22:23]
	v_add_f64 v[64:65], v[64:65], -v[66:67]
	v_fma_f64 v[66:67], v[72:73], s[20:21], -v[62:63]
	v_add_f64 v[66:67], v[66:67], v[78:79]
	v_mul_f64 v[78:79], v[64:65], s[22:23]
	v_fmac_f64_e32 v[62:63], s[20:21], v[72:73]
	v_fma_f64 v[80:81], s[20:21], v[74:75], v[78:79]
	v_add_f64 v[62:63], v[62:63], v[76:77]
	v_fma_f64 v[76:77], v[74:75], s[20:21], -v[78:79]
	v_mul_f64 v[78:79], v[60:61], s[30:31]
	v_add_f64 v[68:69], v[82:83], v[68:69]
	v_add_f64 v[76:77], v[76:77], v[84:85]
	v_fma_f64 v[82:83], v[72:73], s[6:7], -v[78:79]
	v_mul_f64 v[84:85], v[64:65], s[30:31]
	v_fmac_f64_e32 v[78:79], s[6:7], v[72:73]
	v_add_f64 v[80:81], v[80:81], v[90:91]
	v_fma_f64 v[90:91], s[6:7], v[74:75], v[84:85]
	v_add_f64 v[78:79], v[78:79], v[86:87]
	v_fma_f64 v[84:85], v[74:75], s[6:7], -v[84:85]
	v_mul_f64 v[86:87], v[60:61], s[10:11]
	v_add_f64 v[82:83], v[82:83], v[94:95]
	v_add_f64 v[84:85], v[84:85], v[88:89]
	v_fma_f64 v[88:89], v[72:73], s[18:19], -v[86:87]
	v_mul_f64 v[94:95], v[64:65], s[10:11]
	v_fmac_f64_e32 v[86:87], s[18:19], v[72:73]
	v_add_f64 v[90:91], v[90:91], v[98:99]
	v_fma_f64 v[98:99], s[18:19], v[74:75], v[94:95]
	v_add_f64 v[86:87], v[86:87], v[92:93]
	v_fma_f64 v[92:93], v[74:75], s[18:19], -v[94:95]
	v_mul_f64 v[94:95], v[60:61], s[26:27]
	v_add_f64 v[118:119], v[118:119], v[126:127]
	v_add_f64 v[88:89], v[88:89], v[100:101]
	;; [unrolled: 1-line block ×3, first 2 shown]
	v_fma_f64 v[96:97], v[72:73], s[24:25], -v[94:95]
	v_mul_f64 v[100:101], v[64:65], s[26:27]
	v_add_f64 v[116:117], v[116:117], v[130:131]
	v_add_f64 v[122:123], v[122:123], v[132:133]
	;; [unrolled: 1-line block ×4, first 2 shown]
	v_fma_f64 v[104:105], s[24:25], v[74:75], v[100:101]
	v_fmac_f64_e32 v[94:95], s[24:25], v[72:73]
	v_fma_f64 v[100:101], v[74:75], s[24:25], -v[100:101]
	v_mul_f64 v[60:61], v[60:61], s[14:15]
	v_mul_f64 v[64:65], v[64:65], s[14:15]
	v_add_f64 v[118:119], v[52:53], -v[54:55]
	v_add_f64 v[110:111], v[110:111], v[116:117]
	v_add_f64 v[114:115], v[114:115], v[122:123]
	;; [unrolled: 1-line block ×5, first 2 shown]
	v_fma_f64 v[102:103], v[72:73], s[4:5], -v[60:61]
	v_fma_f64 v[106:107], s[4:5], v[74:75], v[64:65]
	v_fmac_f64_e32 v[60:61], s[4:5], v[72:73]
	v_add_f64 v[112:113], v[56:57], v[58:59]
	v_add_f64 v[116:117], v[56:57], -v[58:59]
	v_mul_f64 v[56:57], v[118:119], s[26:27]
	v_add_f64 v[98:99], v[98:99], v[108:109]
	v_add_f64 v[106:107], v[106:107], v[114:115]
	;; [unrolled: 1-line block ×3, first 2 shown]
	v_fma_f64 v[60:61], v[74:75], s[4:5], -v[64:65]
	v_add_f64 v[114:115], v[52:53], v[54:55]
	v_fma_f64 v[52:53], v[112:113], s[24:25], -v[56:57]
	v_mul_f64 v[58:59], v[116:117], s[26:27]
	v_fmac_f64_e32 v[56:57], s[24:25], v[112:113]
	v_add_f64 v[102:103], v[102:103], v[110:111]
	v_add_f64 v[110:111], v[60:61], v[70:71]
	;; [unrolled: 1-line block ×3, first 2 shown]
	v_fma_f64 v[56:57], v[114:115], s[24:25], -v[58:59]
	v_mul_f64 v[60:61], v[118:119], s[28:29]
	v_add_f64 v[70:71], v[56:57], v[76:77]
	v_fma_f64 v[56:57], v[112:113], s[18:19], -v[60:61]
	v_mul_f64 v[62:63], v[116:117], s[28:29]
	v_fmac_f64_e32 v[60:61], s[18:19], v[112:113]
	v_add_f64 v[72:73], v[60:61], v[78:79]
	v_fma_f64 v[60:61], v[114:115], s[18:19], -v[62:63]
	v_mul_f64 v[64:65], v[118:119], s[22:23]
	v_add_f64 v[52:53], v[52:53], v[66:67]
	v_fma_f64 v[54:55], s[24:25], v[114:115], v[58:59]
	v_add_f64 v[74:75], v[60:61], v[84:85]
	v_fma_f64 v[60:61], v[112:113], s[20:21], -v[64:65]
	v_mul_f64 v[66:67], v[116:117], s[22:23]
	v_fmac_f64_e32 v[64:65], s[20:21], v[112:113]
	v_add_f64 v[54:55], v[54:55], v[80:81]
	v_add_f64 v[80:81], v[64:65], v[86:87]
	v_fma_f64 v[64:65], v[114:115], s[20:21], -v[66:67]
	v_mul_f64 v[76:77], v[118:119], s[14:15]
	v_add_f64 v[56:57], v[56:57], v[82:83]
	v_fma_f64 v[58:59], s[18:19], v[114:115], v[62:63]
	v_add_f64 v[82:83], v[64:65], v[92:93]
	v_fma_f64 v[64:65], v[112:113], s[4:5], -v[76:77]
	v_mul_f64 v[78:79], v[116:117], s[14:15]
	v_fmac_f64_e32 v[76:77], s[4:5], v[112:113]
	v_add_f64 v[58:59], v[58:59], v[90:91]
	v_add_f64 v[60:61], v[60:61], v[88:89]
	;; [unrolled: 1-line block ×3, first 2 shown]
	v_fma_f64 v[76:77], v[114:115], s[4:5], -v[78:79]
	v_mul_f64 v[88:89], v[118:119], s[16:17]
	v_mul_f64 v[90:91], v[116:117], s[16:17]
	v_fma_f64 v[62:63], s[20:21], v[114:115], v[66:67]
	v_fma_f64 v[66:67], s[4:5], v[114:115], v[78:79]
	v_add_f64 v[86:87], v[76:77], v[100:101]
	v_fma_f64 v[76:77], v[112:113], s[6:7], -v[88:89]
	v_fma_f64 v[78:79], s[6:7], v[114:115], v[90:91]
	v_fmac_f64_e32 v[88:89], s[6:7], v[112:113]
	v_fma_f64 v[90:91], v[114:115], s[6:7], -v[90:91]
	v_add_f64 v[62:63], v[62:63], v[98:99]
	v_add_f64 v[64:65], v[64:65], v[96:97]
	;; [unrolled: 1-line block ×7, first 2 shown]
	ds_write_b128 v170, v[48:51]
	ds_write_b128 v170, v[52:55] offset:208
	ds_write_b128 v170, v[56:59] offset:416
	;; [unrolled: 1-line block ×10, first 2 shown]
	s_waitcnt lgkmcnt(0)
	s_barrier
	s_and_saveexec_b64 s[4:5], vcc
	s_cbranch_execz .LBB0_9
; %bb.8:
	global_load_dwordx4 v[92:95], v121, s[8:9] offset:2288
	s_add_u32 s6, s8, 0x8f0
	s_addc_u32 s7, s9, 0
	global_load_dwordx4 v[96:99], v121, s[6:7] offset:176
	global_load_dwordx4 v[100:103], v121, s[6:7] offset:352
	;; [unrolled: 1-line block ×12, first 2 shown]
	ds_read_b128 v[146:149], v170
	ds_read_b128 v[150:153], v170 offset:176
	ds_read_b128 v[154:157], v170 offset:352
	;; [unrolled: 1-line block ×12, first 2 shown]
	s_waitcnt vmcnt(5) lgkmcnt(5)
	v_mul_f64 v[210:211], v[184:185], v[124:125]
	s_waitcnt vmcnt(4) lgkmcnt(4)
	v_mul_f64 v[212:213], v[188:189], v[128:129]
	v_mul_f64 v[176:177], v[148:149], v[94:95]
	;; [unrolled: 1-line block ×3, first 2 shown]
	v_fma_f64 v[206:207], v[146:147], v[92:93], -v[176:177]
	v_fmac_f64_e32 v[208:209], v[148:149], v[92:93]
	v_mul_f64 v[92:93], v[152:153], v[98:99]
	v_mul_f64 v[94:95], v[150:151], v[98:99]
	ds_write_b128 v170, v[206:209]
	v_mul_f64 v[146:147], v[156:157], v[102:103]
	v_mul_f64 v[98:99], v[154:155], v[102:103]
	;; [unrolled: 1-line block ×12, first 2 shown]
	s_waitcnt vmcnt(3) lgkmcnt(4)
	v_mul_f64 v[214:215], v[192:193], v[132:133]
	v_mul_f64 v[128:129], v[190:191], v[132:133]
	s_waitcnt vmcnt(2) lgkmcnt(3)
	v_mul_f64 v[216:217], v[196:197], v[136:137]
	v_mul_f64 v[132:133], v[194:195], v[136:137]
	s_waitcnt vmcnt(1) lgkmcnt(2)
	v_mul_f64 v[136:137], v[200:201], v[140:141]
	v_fma_f64 v[92:93], v[150:151], v[96:97], -v[92:93]
	v_fmac_f64_e32 v[94:95], v[152:153], v[96:97]
	v_fma_f64 v[96:97], v[154:155], v[100:101], -v[146:147]
	v_fmac_f64_e32 v[98:99], v[156:157], v[100:101]
	;; [unrolled: 2-line block ×10, first 2 shown]
	v_fma_f64 v[134:135], v[198:199], v[138:139], -v[136:137]
	ds_write_b128 v170, v[92:95] offset:176
	ds_write_b128 v170, v[96:99] offset:352
	ds_write_b128 v170, v[100:103] offset:528
	ds_write_b128 v170, v[104:107] offset:704
	ds_write_b128 v170, v[108:111] offset:880
	ds_write_b128 v170, v[112:115] offset:1056
	ds_write_b128 v170, v[116:119] offset:1232
	ds_write_b128 v170, v[122:125] offset:1408
	ds_write_b128 v170, v[126:129] offset:1584
	ds_write_b128 v170, v[130:133] offset:1760
	v_mul_f64 v[136:137], v[198:199], v[140:141]
	s_waitcnt vmcnt(0) lgkmcnt(11)
	v_mul_f64 v[92:93], v[204:205], v[144:145]
	v_mul_f64 v[94:95], v[202:203], v[144:145]
	v_fmac_f64_e32 v[136:137], v[200:201], v[138:139]
	v_fma_f64 v[92:93], v[202:203], v[142:143], -v[92:93]
	v_fmac_f64_e32 v[94:95], v[204:205], v[142:143]
	ds_write_b128 v170, v[134:137] offset:1936
	ds_write_b128 v170, v[92:95] offset:2112
.LBB0_9:
	s_or_b64 exec, exec, s[4:5]
	s_waitcnt lgkmcnt(0)
	s_barrier
	s_and_saveexec_b64 s[4:5], vcc
	s_cbranch_execz .LBB0_11
; %bb.10:
	ds_read_b128 v[48:51], v170
	ds_read_b128 v[52:55], v170 offset:176
	ds_read_b128 v[56:59], v170 offset:352
	;; [unrolled: 1-line block ×12, first 2 shown]
.LBB0_11:
	s_or_b64 exec, exec, s[4:5]
	s_waitcnt lgkmcnt(0)
	s_barrier
	s_and_saveexec_b64 s[4:5], vcc
	s_cbranch_execz .LBB0_13
; %bb.12:
	s_mov_b32 s28, 0x4bc48dbf
	v_add_f64 v[156:157], v[52:53], -v[0:1]
	s_mov_b32 s29, 0xbfcea1e5
	s_mov_b32 s24, 0x93053d00
	;; [unrolled: 1-line block ×3, first 2 shown]
	v_add_f64 v[154:155], v[56:57], -v[4:5]
	s_mov_b32 s27, 0x3fddbe06
	s_mov_b32 s26, 0x4267c47c
	;; [unrolled: 1-line block ×3, first 2 shown]
	v_mul_f64 v[112:113], v[156:157], s[28:29]
	v_add_f64 v[138:139], v[54:55], v[2:3]
	s_mov_b32 s25, 0xbfef11f4
	v_add_f64 v[168:169], v[54:55], -v[2:3]
	s_mov_b32 s38, 0x42a4c3d2
	v_add_f64 v[144:145], v[60:61], -v[68:69]
	s_mov_b32 s23, 0xbfe5384d
	s_mov_b32 s18, 0xd0032e0c
	v_mul_f64 v[108:109], v[154:155], s[26:27]
	v_add_f64 v[134:135], v[58:59], v[6:7]
	s_mov_b32 s21, 0x3fec55a7
	v_fma_f64 v[114:115], s[24:25], v[138:139], v[112:113]
	v_add_f64 v[166:167], v[58:59], -v[6:7]
	v_add_f64 v[152:153], v[52:53], v[0:1]
	v_mul_f64 v[182:183], v[168:169], s[28:29]
	s_mov_b32 s16, 0x2ef20147
	v_add_f64 v[136:137], v[64:65], -v[72:73]
	s_mov_b32 s39, 0x3fea55e2
	s_mov_b32 s14, 0x1ea71119
	v_mul_f64 v[104:105], v[144:145], s[22:23]
	v_add_f64 v[130:131], v[62:63], v[70:71]
	s_mov_b32 s19, 0xbfe7f3cc
	v_fma_f64 v[110:111], s[20:21], v[134:135], v[108:109]
	v_add_f64 v[114:115], v[50:51], v[114:115]
	v_add_f64 v[164:165], v[62:63], -v[70:71]
	v_add_f64 v[150:151], v[56:57], v[4:5]
	v_mul_f64 v[174:175], v[166:167], s[26:27]
	v_fma_f64 v[184:185], v[152:153], s[24:25], -v[182:183]
	s_mov_b32 s30, 0x66966769
	v_add_f64 v[132:133], v[76:77], -v[80:81]
	s_mov_b32 s17, 0xbfedeba7
	s_mov_b32 s10, 0xb2365da1
	v_mul_f64 v[100:101], v[136:137], s[38:39]
	v_add_f64 v[126:127], v[66:67], v[74:75]
	s_mov_b32 s15, 0x3fe22d96
	v_fma_f64 v[106:107], s[18:19], v[130:131], v[104:105]
	v_add_f64 v[110:111], v[110:111], v[114:115]
	v_add_f64 v[162:163], v[66:67], -v[74:75]
	v_add_f64 v[148:149], v[60:61], v[68:69]
	v_mul_f64 v[118:119], v[164:165], s[22:23]
	v_fma_f64 v[176:177], v[150:151], s[20:21], -v[174:175]
	v_add_f64 v[184:185], v[48:49], v[184:185]
	v_add_f64 v[128:129], v[88:89], -v[84:85]
	s_mov_b32 s31, 0x3fefc445
	s_mov_b32 s6, 0xebaa3ed8
	v_mul_f64 v[98:99], v[132:133], s[16:17]
	v_add_f64 v[124:125], v[78:79], v[82:83]
	s_mov_b32 s11, 0xbfd6b1d8
	v_fma_f64 v[102:103], s[14:15], v[126:127], v[100:101]
	v_add_f64 v[106:107], v[106:107], v[110:111]
	v_add_f64 v[160:161], v[78:79], -v[82:83]
	v_add_f64 v[146:147], v[64:65], v[72:73]
	v_mul_f64 v[114:115], v[162:163], s[38:39]
	v_fma_f64 v[172:173], v[148:149], s[18:19], -v[118:119]
	v_add_f64 v[176:177], v[176:177], v[184:185]
	v_mul_f64 v[96:97], v[128:129], s[30:31]
	v_add_f64 v[122:123], v[90:91], v[86:87]
	s_mov_b32 s7, 0x3fbedb7d
	v_fma_f64 v[94:95], s[10:11], v[124:125], v[98:99]
	v_add_f64 v[102:103], v[102:103], v[106:107]
	v_add_f64 v[158:159], v[90:91], -v[86:87]
	v_add_f64 v[142:143], v[76:77], v[80:81]
	v_mul_f64 v[106:107], v[160:161], s[16:17]
	v_fma_f64 v[116:117], v[146:147], s[14:15], -v[114:115]
	v_add_f64 v[172:173], v[172:173], v[176:177]
	v_fma_f64 v[92:93], s[6:7], v[122:123], v[96:97]
	v_add_f64 v[94:95], v[94:95], v[102:103]
	v_add_f64 v[140:141], v[88:89], v[84:85]
	v_mul_f64 v[102:103], v[158:159], s[30:31]
	v_fma_f64 v[110:111], v[142:143], s[10:11], -v[106:107]
	v_add_f64 v[116:117], v[116:117], v[172:173]
	v_add_f64 v[94:95], v[92:93], v[94:95]
	v_fma_f64 v[92:93], v[140:141], s[6:7], -v[102:103]
	v_add_f64 v[110:111], v[110:111], v[116:117]
	v_add_f64 v[92:93], v[92:93], v[110:111]
	v_fma_f64 v[110:111], v[138:139], s[24:25], -v[112:113]
	v_fma_f64 v[108:109], v[134:135], s[20:21], -v[108:109]
	v_add_f64 v[110:111], v[50:51], v[110:111]
	v_fma_f64 v[104:105], v[130:131], s[18:19], -v[104:105]
	v_add_f64 v[108:109], v[108:109], v[110:111]
	;; [unrolled: 2-line block ×5, first 2 shown]
	v_fmac_f64_e32 v[182:183], s[24:25], v[152:153]
	v_add_f64 v[98:99], v[96:97], v[98:99]
	v_fmac_f64_e32 v[174:175], s[20:21], v[150:151]
	v_add_f64 v[96:97], v[48:49], v[182:183]
	v_mul_f64 v[172:173], v[156:157], s[22:23]
	v_fmac_f64_e32 v[118:119], s[18:19], v[148:149]
	v_add_f64 v[96:97], v[174:175], v[96:97]
	s_mov_b32 s35, 0xbfea55e2
	s_mov_b32 s34, s38
	v_mul_f64 v[116:117], v[154:155], s[30:31]
	v_fma_f64 v[174:175], s[18:19], v[138:139], v[172:173]
	v_mul_f64 v[190:191], v[168:169], s[22:23]
	v_fmac_f64_e32 v[114:115], s[14:15], v[146:147]
	v_add_f64 v[96:97], v[118:119], v[96:97]
	s_mov_b32 s43, 0x3fcea1e5
	s_mov_b32 s42, s28
	v_mul_f64 v[112:113], v[144:145], s[34:35]
	v_fma_f64 v[118:119], s[6:7], v[134:135], v[116:117]
	v_add_f64 v[174:175], v[50:51], v[174:175]
	v_mul_f64 v[186:187], v[166:167], s[30:31]
	v_fma_f64 v[192:193], v[152:153], s[18:19], -v[190:191]
	v_fmac_f64_e32 v[106:107], s[10:11], v[142:143]
	v_add_f64 v[96:97], v[114:115], v[96:97]
	v_mul_f64 v[108:109], v[136:137], s[42:43]
	v_fma_f64 v[114:115], s[14:15], v[130:131], v[112:113]
	v_add_f64 v[118:119], v[118:119], v[174:175]
	v_mul_f64 v[182:183], v[164:165], s[34:35]
	v_fma_f64 v[188:189], v[150:151], s[6:7], -v[186:187]
	v_add_f64 v[192:193], v[48:49], v[192:193]
	v_fmac_f64_e32 v[102:103], s[6:7], v[140:141]
	v_add_f64 v[96:97], v[106:107], v[96:97]
	v_mul_f64 v[106:107], v[132:133], s[26:27]
	v_fma_f64 v[110:111], s[24:25], v[126:127], v[108:109]
	v_add_f64 v[114:115], v[114:115], v[118:119]
	v_mul_f64 v[174:175], v[162:163], s[42:43]
	v_fma_f64 v[184:185], v[148:149], s[14:15], -v[182:183]
	v_add_f64 v[188:189], v[188:189], v[192:193]
	v_add_f64 v[96:97], v[102:103], v[96:97]
	v_mul_f64 v[104:105], v[128:129], s[16:17]
	v_fma_f64 v[102:103], s[20:21], v[124:125], v[106:107]
	v_add_f64 v[110:111], v[110:111], v[114:115]
	v_mul_f64 v[114:115], v[160:161], s[26:27]
	v_fma_f64 v[176:177], v[146:147], s[24:25], -v[174:175]
	v_add_f64 v[184:185], v[184:185], v[188:189]
	v_fma_f64 v[100:101], s[10:11], v[122:123], v[104:105]
	v_add_f64 v[102:103], v[102:103], v[110:111]
	v_mul_f64 v[110:111], v[158:159], s[16:17]
	v_fma_f64 v[118:119], v[142:143], s[20:21], -v[114:115]
	v_add_f64 v[176:177], v[176:177], v[184:185]
	v_add_f64 v[102:103], v[100:101], v[102:103]
	v_fma_f64 v[100:101], v[140:141], s[10:11], -v[110:111]
	v_add_f64 v[118:119], v[118:119], v[176:177]
	v_add_f64 v[100:101], v[100:101], v[118:119]
	v_fma_f64 v[118:119], v[138:139], s[18:19], -v[172:173]
	v_fma_f64 v[116:117], v[134:135], s[6:7], -v[116:117]
	v_add_f64 v[118:119], v[50:51], v[118:119]
	v_fma_f64 v[112:113], v[130:131], s[14:15], -v[112:113]
	v_add_f64 v[116:117], v[116:117], v[118:119]
	;; [unrolled: 2-line block ×5, first 2 shown]
	v_fmac_f64_e32 v[190:191], s[18:19], v[152:153]
	v_add_f64 v[106:107], v[104:105], v[106:107]
	v_fmac_f64_e32 v[186:187], s[6:7], v[150:151]
	v_add_f64 v[104:105], v[48:49], v[190:191]
	s_mov_b32 s41, 0x3fe5384d
	s_mov_b32 s40, s22
	v_mul_f64 v[184:185], v[156:157], s[16:17]
	v_fmac_f64_e32 v[182:183], s[14:15], v[148:149]
	v_add_f64 v[104:105], v[186:187], v[104:105]
	v_mul_f64 v[176:177], v[154:155], s[40:41]
	v_fma_f64 v[186:187], s[10:11], v[138:139], v[184:185]
	v_mul_f64 v[198:199], v[168:169], s[16:17]
	v_fmac_f64_e32 v[174:175], s[24:25], v[146:147]
	v_add_f64 v[104:105], v[182:183], v[104:105]
	s_mov_b32 s37, 0xbfefc445
	s_mov_b32 s36, s30
	v_mul_f64 v[172:173], v[144:145], s[26:27]
	v_fma_f64 v[182:183], s[18:19], v[134:135], v[176:177]
	v_add_f64 v[186:187], v[50:51], v[186:187]
	v_mul_f64 v[194:195], v[166:167], s[40:41]
	v_fma_f64 v[200:201], v[152:153], s[10:11], -v[198:199]
	v_fmac_f64_e32 v[114:115], s[20:21], v[142:143]
	v_add_f64 v[104:105], v[174:175], v[104:105]
	v_mul_f64 v[116:117], v[136:137], s[36:37]
	v_fma_f64 v[174:175], s[20:21], v[130:131], v[172:173]
	v_add_f64 v[182:183], v[182:183], v[186:187]
	v_mul_f64 v[190:191], v[164:165], s[26:27]
	v_fma_f64 v[196:197], v[150:151], s[18:19], -v[194:195]
	v_add_f64 v[200:201], v[48:49], v[200:201]
	v_fmac_f64_e32 v[110:111], s[10:11], v[140:141]
	v_add_f64 v[104:105], v[114:115], v[104:105]
	v_mul_f64 v[114:115], v[132:133], s[42:43]
	v_fma_f64 v[118:119], s[6:7], v[126:127], v[116:117]
	v_add_f64 v[174:175], v[174:175], v[182:183]
	v_mul_f64 v[186:187], v[162:163], s[36:37]
	v_fma_f64 v[192:193], v[148:149], s[20:21], -v[190:191]
	v_add_f64 v[196:197], v[196:197], v[200:201]
	v_add_f64 v[104:105], v[110:111], v[104:105]
	v_mul_f64 v[112:113], v[128:129], s[38:39]
	v_fma_f64 v[110:111], s[24:25], v[124:125], v[114:115]
	v_add_f64 v[118:119], v[118:119], v[174:175]
	v_mul_f64 v[174:175], v[160:161], s[42:43]
	v_fma_f64 v[188:189], v[146:147], s[6:7], -v[186:187]
	v_add_f64 v[192:193], v[192:193], v[196:197]
	v_fma_f64 v[108:109], s[14:15], v[122:123], v[112:113]
	v_add_f64 v[110:111], v[110:111], v[118:119]
	v_mul_f64 v[118:119], v[158:159], s[38:39]
	v_fma_f64 v[182:183], v[142:143], s[24:25], -v[174:175]
	v_add_f64 v[188:189], v[188:189], v[192:193]
	v_add_f64 v[110:111], v[108:109], v[110:111]
	v_fma_f64 v[108:109], v[140:141], s[14:15], -v[118:119]
	v_add_f64 v[182:183], v[182:183], v[188:189]
	v_add_f64 v[108:109], v[108:109], v[182:183]
	v_fma_f64 v[182:183], v[138:139], s[10:11], -v[184:185]
	v_fma_f64 v[176:177], v[134:135], s[18:19], -v[176:177]
	v_add_f64 v[182:183], v[50:51], v[182:183]
	v_fma_f64 v[172:173], v[130:131], s[20:21], -v[172:173]
	v_add_f64 v[176:177], v[176:177], v[182:183]
	;; [unrolled: 2-line block ×5, first 2 shown]
	v_fmac_f64_e32 v[198:199], s[10:11], v[152:153]
	v_add_f64 v[114:115], v[112:113], v[114:115]
	v_fmac_f64_e32 v[194:195], s[18:19], v[150:151]
	v_add_f64 v[112:113], v[48:49], v[198:199]
	v_mul_f64 v[192:193], v[156:157], s[36:37]
	v_fmac_f64_e32 v[190:191], s[20:21], v[148:149]
	v_add_f64 v[112:113], v[194:195], v[112:113]
	s_mov_b32 s39, 0x3fedeba7
	s_mov_b32 s38, s16
	v_mul_f64 v[188:189], v[154:155], s[28:29]
	v_fma_f64 v[194:195], s[6:7], v[138:139], v[192:193]
	v_mul_f64 v[206:207], v[168:169], s[36:37]
	v_fmac_f64_e32 v[186:187], s[6:7], v[146:147]
	v_add_f64 v[112:113], v[190:191], v[112:113]
	v_mul_f64 v[184:185], v[144:145], s[38:39]
	v_fma_f64 v[190:191], s[24:25], v[134:135], v[188:189]
	v_add_f64 v[194:195], v[50:51], v[194:195]
	v_mul_f64 v[202:203], v[166:167], s[28:29]
	v_fma_f64 v[208:209], v[152:153], s[6:7], -v[206:207]
	v_fmac_f64_e32 v[174:175], s[24:25], v[142:143]
	v_add_f64 v[112:113], v[186:187], v[112:113]
	v_mul_f64 v[176:177], v[136:137], s[26:27]
	v_fma_f64 v[186:187], s[10:11], v[130:131], v[184:185]
	v_add_f64 v[190:191], v[190:191], v[194:195]
	v_mul_f64 v[198:199], v[164:165], s[38:39]
	v_fma_f64 v[204:205], v[150:151], s[24:25], -v[202:203]
	v_add_f64 v[208:209], v[48:49], v[208:209]
	v_fmac_f64_e32 v[118:119], s[14:15], v[140:141]
	v_add_f64 v[112:113], v[174:175], v[112:113]
	v_mul_f64 v[174:175], v[132:133], s[34:35]
	v_fma_f64 v[182:183], s[20:21], v[126:127], v[176:177]
	v_add_f64 v[186:187], v[186:187], v[190:191]
	v_mul_f64 v[194:195], v[162:163], s[26:27]
	v_fma_f64 v[200:201], v[148:149], s[10:11], -v[198:199]
	v_add_f64 v[204:205], v[204:205], v[208:209]
	v_add_f64 v[112:113], v[118:119], v[112:113]
	v_mul_f64 v[172:173], v[128:129], s[22:23]
	v_fma_f64 v[118:119], s[14:15], v[124:125], v[174:175]
	v_add_f64 v[182:183], v[182:183], v[186:187]
	v_mul_f64 v[186:187], v[160:161], s[34:35]
	v_fma_f64 v[196:197], v[146:147], s[20:21], -v[194:195]
	v_add_f64 v[200:201], v[200:201], v[204:205]
	v_fma_f64 v[116:117], s[18:19], v[122:123], v[172:173]
	v_add_f64 v[118:119], v[118:119], v[182:183]
	v_mul_f64 v[182:183], v[158:159], s[22:23]
	v_fma_f64 v[190:191], v[142:143], s[14:15], -v[186:187]
	v_add_f64 v[196:197], v[196:197], v[200:201]
	v_add_f64 v[118:119], v[116:117], v[118:119]
	v_fma_f64 v[116:117], v[140:141], s[18:19], -v[182:183]
	v_add_f64 v[190:191], v[190:191], v[196:197]
	v_add_f64 v[116:117], v[116:117], v[190:191]
	v_fma_f64 v[190:191], v[138:139], s[6:7], -v[192:193]
	v_fma_f64 v[188:189], v[134:135], s[24:25], -v[188:189]
	v_add_f64 v[190:191], v[50:51], v[190:191]
	v_fma_f64 v[184:185], v[130:131], s[10:11], -v[184:185]
	v_add_f64 v[188:189], v[188:189], v[190:191]
	;; [unrolled: 2-line block ×5, first 2 shown]
	v_fmac_f64_e32 v[206:207], s[6:7], v[152:153]
	v_add_f64 v[174:175], v[172:173], v[174:175]
	v_fmac_f64_e32 v[202:203], s[24:25], v[150:151]
	v_add_f64 v[172:173], v[48:49], v[206:207]
	v_mul_f64 v[200:201], v[156:157], s[34:35]
	v_fmac_f64_e32 v[198:199], s[10:11], v[148:149]
	v_add_f64 v[172:173], v[202:203], v[172:173]
	v_mul_f64 v[196:197], v[154:155], s[16:17]
	v_fma_f64 v[202:203], s[14:15], v[138:139], v[200:201]
	v_mul_f64 v[214:215], v[168:169], s[34:35]
	v_fmac_f64_e32 v[194:195], s[20:21], v[146:147]
	v_add_f64 v[172:173], v[198:199], v[172:173]
	v_mul_f64 v[192:193], v[144:145], s[28:29]
	v_fma_f64 v[198:199], s[10:11], v[134:135], v[196:197]
	v_add_f64 v[202:203], v[50:51], v[202:203]
	v_mul_f64 v[210:211], v[166:167], s[16:17]
	v_fma_f64 v[216:217], v[152:153], s[14:15], -v[214:215]
	v_fmac_f64_e32 v[186:187], s[14:15], v[142:143]
	v_add_f64 v[172:173], v[194:195], v[172:173]
	v_mul_f64 v[188:189], v[136:137], s[40:41]
	v_fma_f64 v[194:195], s[24:25], v[130:131], v[192:193]
	v_add_f64 v[198:199], v[198:199], v[202:203]
	v_mul_f64 v[206:207], v[164:165], s[28:29]
	v_fma_f64 v[212:213], v[150:151], s[10:11], -v[210:211]
	v_add_f64 v[216:217], v[48:49], v[216:217]
	v_add_f64 v[172:173], v[186:187], v[172:173]
	v_mul_f64 v[186:187], v[132:133], s[30:31]
	v_fma_f64 v[190:191], s[18:19], v[126:127], v[188:189]
	v_add_f64 v[194:195], v[194:195], v[198:199]
	v_mul_f64 v[202:203], v[162:163], s[40:41]
	v_fma_f64 v[208:209], v[148:149], s[24:25], -v[206:207]
	v_add_f64 v[212:213], v[212:213], v[216:217]
	v_fmac_f64_e32 v[182:183], s[18:19], v[140:141]
	v_mul_f64 v[176:177], v[128:129], s[26:27]
	v_fma_f64 v[184:185], s[6:7], v[124:125], v[186:187]
	v_add_f64 v[190:191], v[190:191], v[194:195]
	v_mul_f64 v[194:195], v[160:161], s[30:31]
	v_fma_f64 v[204:205], v[146:147], s[18:19], -v[202:203]
	v_add_f64 v[208:209], v[208:209], v[212:213]
	v_add_f64 v[172:173], v[182:183], v[172:173]
	v_fma_f64 v[182:183], s[20:21], v[122:123], v[176:177]
	v_add_f64 v[184:185], v[184:185], v[190:191]
	v_mul_f64 v[190:191], v[158:159], s[26:27]
	v_fma_f64 v[198:199], v[142:143], s[6:7], -v[194:195]
	v_add_f64 v[204:205], v[204:205], v[208:209]
	v_add_f64 v[184:185], v[182:183], v[184:185]
	v_fma_f64 v[182:183], v[140:141], s[20:21], -v[190:191]
	v_add_f64 v[198:199], v[198:199], v[204:205]
	v_add_f64 v[182:183], v[182:183], v[198:199]
	v_fma_f64 v[198:199], v[138:139], s[14:15], -v[200:201]
	v_fma_f64 v[196:197], v[134:135], s[10:11], -v[196:197]
	v_add_f64 v[198:199], v[50:51], v[198:199]
	v_fma_f64 v[192:193], v[130:131], s[24:25], -v[192:193]
	v_add_f64 v[196:197], v[196:197], v[198:199]
	;; [unrolled: 2-line block ×5, first 2 shown]
	v_fmac_f64_e32 v[214:215], s[14:15], v[152:153]
	v_add_f64 v[188:189], v[176:177], v[186:187]
	v_fmac_f64_e32 v[210:211], s[10:11], v[150:151]
	v_add_f64 v[176:177], v[48:49], v[214:215]
	;; [unrolled: 2-line block ×5, first 2 shown]
	s_mov_b32 s27, 0xbfddbe06
	v_fmac_f64_e32 v[190:191], s[20:21], v[140:141]
	v_add_f64 v[176:177], v[194:195], v[176:177]
	v_mul_f64 v[132:133], v[132:133], s[22:23]
	v_mul_f64 v[198:199], v[156:157], s[26:27]
	v_add_f64 v[186:187], v[190:191], v[176:177]
	v_fma_f64 v[190:191], s[18:19], v[124:125], v[132:133]
	v_fma_f64 v[156:157], s[20:21], v[138:139], v[198:199]
	v_fma_f64 v[124:125], v[124:125], s[18:19], -v[132:133]
	v_fma_f64 v[132:133], v[138:139], s[20:21], -v[198:199]
	v_add_f64 v[156:157], v[50:51], v[156:157]
	v_add_f64 v[132:133], v[50:51], v[132:133]
	;; [unrolled: 1-line block ×15, first 2 shown]
	v_mul_f64 v[128:129], v[128:129], s[28:29]
	v_mul_f64 v[144:145], v[144:145], s[36:37]
	v_mul_f64 v[196:197], v[154:155], s[34:35]
	v_add_f64 v[6:7], v[6:7], v[56:57]
	v_fma_f64 v[176:177], s[24:25], v[122:123], v[128:129]
	v_fma_f64 v[194:195], s[6:7], v[130:131], v[144:145]
	v_fma_f64 v[122:123], v[122:123], s[24:25], -v[128:129]
	v_fma_f64 v[128:129], v[130:131], s[6:7], -v[144:145]
	;; [unrolled: 1-line block ×3, first 2 shown]
	v_add_f64 v[6:7], v[6:7], v[60:61]
	v_mul_f64 v[136:137], v[136:137], s[16:17]
	v_add_f64 v[130:131], v[130:131], v[132:133]
	v_add_f64 v[6:7], v[6:7], v[64:65]
	v_fma_f64 v[192:193], s[10:11], v[126:127], v[136:137]
	v_fma_f64 v[126:127], v[126:127], s[10:11], -v[136:137]
	v_add_f64 v[128:129], v[128:129], v[130:131]
	v_add_f64 v[6:7], v[6:7], v[76:77]
	v_fma_f64 v[154:155], s[14:15], v[134:135], v[196:197]
	v_mul_f64 v[168:169], v[168:169], s[26:27]
	v_add_f64 v[126:127], v[126:127], v[128:129]
	v_add_f64 v[6:7], v[6:7], v[88:89]
	;; [unrolled: 1-line block ×3, first 2 shown]
	v_mul_f64 v[166:167], v[166:167], s[34:35]
	v_fma_f64 v[200:201], v[152:153], s[20:21], -v[168:169]
	v_add_f64 v[124:125], v[124:125], v[126:127]
	v_fmac_f64_e32 v[168:169], s[20:21], v[152:153]
	v_add_f64 v[6:7], v[6:7], v[84:85]
	v_add_f64 v[154:155], v[194:195], v[154:155]
	v_mul_f64 v[164:165], v[164:165], s[36:37]
	v_fma_f64 v[194:195], v[150:151], s[14:15], -v[166:167]
	v_add_f64 v[200:201], v[48:49], v[200:201]
	v_add_f64 v[124:125], v[122:123], v[124:125]
	v_fmac_f64_e32 v[166:167], s[14:15], v[150:151]
	v_add_f64 v[122:123], v[48:49], v[168:169]
	v_add_f64 v[6:7], v[6:7], v[80:81]
	v_add_f64 v[154:155], v[192:193], v[154:155]
	v_mul_f64 v[162:163], v[162:163], s[16:17]
	v_fma_f64 v[192:193], v[148:149], s[6:7], -v[164:165]
	v_add_f64 v[194:195], v[194:195], v[200:201]
	v_fmac_f64_e32 v[164:165], s[6:7], v[148:149]
	v_add_f64 v[122:123], v[166:167], v[122:123]
	v_add_f64 v[6:7], v[6:7], v[72:73]
	v_add_f64 v[154:155], v[190:191], v[154:155]
	v_mul_f64 v[160:161], v[160:161], s[22:23]
	v_fma_f64 v[190:191], v[146:147], s[10:11], -v[162:163]
	;; [unrolled: 7-line block ×3, first 2 shown]
	v_add_f64 v[190:191], v[190:191], v[192:193]
	v_fmac_f64_e32 v[160:161], s[18:19], v[142:143]
	v_add_f64 v[122:123], v[162:163], v[122:123]
	v_add_f64 v[4:5], v[6:7], v[4:5]
	v_fma_f64 v[154:155], v[140:141], s[24:25], -v[158:159]
	v_add_f64 v[176:177], v[176:177], v[190:191]
	v_fmac_f64_e32 v[158:159], s[24:25], v[140:141]
	v_add_f64 v[122:123], v[160:161], v[122:123]
	v_add_f64 v[0:1], v[4:5], v[0:1]
	v_lshl_add_u32 v4, v180, 4, v179
	v_add_f64 v[154:155], v[154:155], v[176:177]
	v_add_f64 v[122:123], v[158:159], v[122:123]
	ds_write_b128 v4, v[0:3]
	ds_write_b128 v4, v[122:125] offset:16
	ds_write_b128 v4, v[186:189] offset:32
	;; [unrolled: 1-line block ×12, first 2 shown]
.LBB0_13:
	s_or_b64 exec, exec, s[4:5]
	s_waitcnt lgkmcnt(0)
	s_barrier
	ds_read_b128 v[4:7], v171
	ds_read_b128 v[0:3], v171 offset:208
	ds_read_b128 v[48:51], v171 offset:416
	;; [unrolled: 1-line block ×10, first 2 shown]
	s_waitcnt lgkmcnt(9)
	v_mul_f64 v[84:85], v[22:23], v[2:3]
	v_fmac_f64_e32 v[84:85], v[20:21], v[0:1]
	v_mul_f64 v[0:1], v[22:23], v[0:1]
	v_fma_f64 v[86:87], v[20:21], v[2:3], -v[0:1]
	s_waitcnt lgkmcnt(8)
	v_mul_f64 v[88:89], v[18:19], v[50:51]
	v_mul_f64 v[0:1], v[18:19], v[48:49]
	v_fmac_f64_e32 v[88:89], v[16:17], v[48:49]
	v_fma_f64 v[48:49], v[16:17], v[50:51], -v[0:1]
	s_waitcnt lgkmcnt(7)
	v_mul_f64 v[50:51], v[14:15], v[54:55]
	v_mul_f64 v[0:1], v[14:15], v[52:53]
	v_fmac_f64_e32 v[50:51], v[12:13], v[52:53]
	v_fma_f64 v[52:53], v[12:13], v[54:55], -v[0:1]
	s_waitcnt lgkmcnt(6)
	v_mul_f64 v[0:1], v[10:11], v[56:57]
	v_fma_f64 v[18:19], v[8:9], v[58:59], -v[0:1]
	s_waitcnt lgkmcnt(5)
	v_mul_f64 v[0:1], v[38:39], v[60:61]
	v_mul_f64 v[16:17], v[10:11], v[58:59]
	v_fma_f64 v[10:11], v[36:37], v[62:63], -v[0:1]
	s_waitcnt lgkmcnt(4)
	v_mul_f64 v[0:1], v[34:35], v[64:65]
	v_fma_f64 v[14:15], v[32:33], v[66:67], -v[0:1]
	s_waitcnt lgkmcnt(3)
	v_mul_f64 v[20:21], v[30:31], v[70:71]
	v_mul_f64 v[0:1], v[30:31], v[68:69]
	v_fmac_f64_e32 v[20:21], v[28:29], v[68:69]
	v_fma_f64 v[22:23], v[28:29], v[70:71], -v[0:1]
	s_waitcnt lgkmcnt(2)
	v_mul_f64 v[28:29], v[26:27], v[74:75]
	v_mul_f64 v[0:1], v[26:27], v[72:73]
	v_add_f64 v[2:3], v[6:7], v[86:87]
	v_fmac_f64_e32 v[28:29], v[24:25], v[72:73]
	v_fma_f64 v[24:25], v[24:25], v[74:75], -v[0:1]
	s_waitcnt lgkmcnt(1)
	v_mul_f64 v[0:1], v[46:47], v[76:77]
	v_add_f64 v[2:3], v[2:3], v[48:49]
	v_fma_f64 v[30:31], v[44:45], v[78:79], -v[0:1]
	s_waitcnt lgkmcnt(0)
	v_mul_f64 v[0:1], v[42:43], v[80:81]
	v_add_f64 v[2:3], v[2:3], v[52:53]
	v_mul_f64 v[12:13], v[34:35], v[66:67]
	v_fma_f64 v[34:35], v[40:41], v[82:83], -v[0:1]
	v_add_f64 v[0:1], v[4:5], v[84:85]
	v_add_f64 v[2:3], v[2:3], v[18:19]
	;; [unrolled: 1-line block ×4, first 2 shown]
	v_fmac_f64_e32 v[16:17], v[8:9], v[56:57]
	v_mul_f64 v[8:9], v[38:39], v[62:63]
	v_add_f64 v[0:1], v[0:1], v[50:51]
	v_add_f64 v[2:3], v[2:3], v[14:15]
	v_fmac_f64_e32 v[8:9], v[36:37], v[60:61]
	v_add_f64 v[0:1], v[0:1], v[16:17]
	v_add_f64 v[2:3], v[2:3], v[22:23]
	v_fmac_f64_e32 v[12:13], v[32:33], v[64:65]
	v_add_f64 v[0:1], v[0:1], v[8:9]
	v_add_f64 v[2:3], v[2:3], v[24:25]
	v_mul_f64 v[32:33], v[42:43], v[82:83]
	v_add_f64 v[0:1], v[0:1], v[12:13]
	v_add_f64 v[2:3], v[2:3], v[30:31]
	s_mov_b32 s18, 0xf8bb580b
	s_mov_b32 s6, 0x8eee2c13
	;; [unrolled: 1-line block ×5, first 2 shown]
	v_mul_f64 v[26:27], v[46:47], v[78:79]
	v_fmac_f64_e32 v[32:33], v[40:41], v[80:81]
	v_add_f64 v[0:1], v[0:1], v[20:21]
	v_add_f64 v[2:3], v[2:3], v[34:35]
	;; [unrolled: 1-line block ×3, first 2 shown]
	v_add_f64 v[34:35], v[86:87], -v[34:35]
	s_mov_b32 s19, 0xbfe14ced
	s_mov_b32 s20, 0x8764f0ba
	;; [unrolled: 1-line block ×10, first 2 shown]
	v_fmac_f64_e32 v[26:27], v[44:45], v[76:77]
	v_add_f64 v[0:1], v[0:1], v[28:29]
	v_add_f64 v[36:37], v[84:85], v[32:33]
	v_mul_f64 v[40:41], v[34:35], s[18:19]
	s_mov_b32 s21, 0x3feaeb8c
	v_mul_f64 v[54:55], v[34:35], s[6:7]
	s_mov_b32 s11, 0x3fda9628
	;; [unrolled: 2-line block ×5, first 2 shown]
	v_add_f64 v[0:1], v[0:1], v[26:27]
	v_fma_f64 v[42:43], s[20:21], v[36:37], v[40:41]
	v_fma_f64 v[40:41], v[36:37], s[20:21], -v[40:41]
	v_fma_f64 v[56:57], s[10:11], v[36:37], v[54:55]
	v_fma_f64 v[54:55], v[36:37], s[10:11], -v[54:55]
	;; [unrolled: 2-line block ×5, first 2 shown]
	v_add_f64 v[0:1], v[0:1], v[32:33]
	v_add_f64 v[32:33], v[84:85], -v[32:33]
	v_add_f64 v[42:43], v[4:5], v[42:43]
	v_mul_f64 v[44:45], v[38:39], s[20:21]
	s_mov_b32 s23, 0x3fe14ced
	s_mov_b32 s22, s18
	v_add_f64 v[40:41], v[4:5], v[40:41]
	v_add_f64 v[56:57], v[4:5], v[56:57]
	v_mul_f64 v[58:59], v[38:39], s[10:11]
	s_mov_b32 s15, 0x3fed1bb4
	s_mov_b32 s14, s6
	v_add_f64 v[54:55], v[4:5], v[54:55]
	v_add_f64 v[64:65], v[4:5], v[64:65]
	v_mul_f64 v[66:67], v[38:39], s[16:17]
	s_mov_b32 s25, 0x3fefac9e
	s_mov_b32 s24, s4
	v_add_f64 v[62:63], v[4:5], v[62:63]
	v_add_f64 v[72:73], v[4:5], v[72:73]
	v_mul_f64 v[74:75], v[38:39], s[28:29]
	s_mov_b32 s31, 0x3fe82f19
	s_mov_b32 s30, s26
	v_add_f64 v[70:71], v[4:5], v[70:71]
	v_add_f64 v[78:79], v[4:5], v[78:79]
	v_mul_f64 v[38:39], v[38:39], s[36:37]
	s_mov_b32 s39, 0x3fd207e7
	s_mov_b32 s38, s34
	v_add_f64 v[4:5], v[4:5], v[34:35]
	v_add_f64 v[34:35], v[48:49], v[30:31]
	v_add_f64 v[30:31], v[48:49], -v[30:31]
	v_fma_f64 v[46:47], s[22:23], v[32:33], v[44:45]
	v_fmac_f64_e32 v[44:45], s[18:19], v[32:33]
	v_fma_f64 v[60:61], s[14:15], v[32:33], v[58:59]
	v_fmac_f64_e32 v[58:59], s[6:7], v[32:33]
	;; [unrolled: 2-line block ×5, first 2 shown]
	v_add_f64 v[32:33], v[88:89], v[26:27]
	v_mul_f64 v[36:37], v[30:31], s[6:7]
	v_add_f64 v[46:47], v[6:7], v[46:47]
	v_add_f64 v[44:45], v[6:7], v[44:45]
	;; [unrolled: 1-line block ×10, first 2 shown]
	v_fma_f64 v[38:39], s[10:11], v[32:33], v[36:37]
	v_add_f64 v[26:27], v[88:89], -v[26:27]
	v_add_f64 v[38:39], v[38:39], v[42:43]
	v_mul_f64 v[42:43], v[34:35], s[10:11]
	v_fma_f64 v[48:49], s[14:15], v[26:27], v[42:43]
	v_fma_f64 v[36:37], v[32:33], s[10:11], -v[36:37]
	v_fmac_f64_e32 v[42:43], s[6:7], v[26:27]
	v_add_f64 v[36:37], v[36:37], v[40:41]
	v_add_f64 v[40:41], v[42:43], v[44:45]
	v_mul_f64 v[42:43], v[30:31], s[26:27]
	v_add_f64 v[46:47], v[48:49], v[46:47]
	v_fma_f64 v[44:45], s[28:29], v[32:33], v[42:43]
	v_mul_f64 v[48:49], v[34:35], s[28:29]
	v_fma_f64 v[42:43], v[32:33], s[28:29], -v[42:43]
	v_add_f64 v[44:45], v[44:45], v[56:57]
	v_fma_f64 v[56:57], s[30:31], v[26:27], v[48:49]
	v_add_f64 v[42:43], v[42:43], v[54:55]
	v_fmac_f64_e32 v[48:49], s[26:27], v[26:27]
	v_mul_f64 v[54:55], v[30:31], s[38:39]
	v_add_f64 v[56:57], v[56:57], v[60:61]
	v_add_f64 v[48:49], v[48:49], v[58:59]
	v_fma_f64 v[58:59], s[36:37], v[32:33], v[54:55]
	v_mul_f64 v[60:61], v[34:35], s[36:37]
	v_fma_f64 v[54:55], v[32:33], s[36:37], -v[54:55]
	v_add_f64 v[58:59], v[58:59], v[64:65]
	v_fma_f64 v[64:65], s[34:35], v[26:27], v[60:61]
	v_add_f64 v[54:55], v[54:55], v[62:63]
	v_fmac_f64_e32 v[60:61], s[38:39], v[26:27]
	v_mul_f64 v[62:63], v[30:31], s[24:25]
	v_add_f64 v[60:61], v[60:61], v[66:67]
	v_fma_f64 v[66:67], s[16:17], v[32:33], v[62:63]
	v_fma_f64 v[62:63], v[32:33], s[16:17], -v[62:63]
	v_mul_f64 v[30:31], v[30:31], s[22:23]
	v_add_f64 v[64:65], v[64:65], v[68:69]
	v_mul_f64 v[68:69], v[34:35], s[16:17]
	v_add_f64 v[62:63], v[62:63], v[70:71]
	v_fma_f64 v[70:71], s[20:21], v[32:33], v[30:31]
	v_fma_f64 v[30:31], v[32:33], s[20:21], -v[30:31]
	v_add_f64 v[66:67], v[66:67], v[72:73]
	v_fma_f64 v[72:73], s[4:5], v[26:27], v[68:69]
	v_fmac_f64_e32 v[68:69], s[24:25], v[26:27]
	v_mul_f64 v[34:35], v[34:35], s[20:21]
	v_add_f64 v[4:5], v[30:31], v[4:5]
	v_add_f64 v[30:31], v[52:53], v[24:25]
	v_add_f64 v[24:25], v[52:53], -v[24:25]
	v_add_f64 v[68:69], v[68:69], v[74:75]
	v_fma_f64 v[74:75], s[18:19], v[26:27], v[34:35]
	v_fmac_f64_e32 v[34:35], s[22:23], v[26:27]
	v_add_f64 v[26:27], v[50:51], v[28:29]
	v_mul_f64 v[32:33], v[24:25], s[4:5]
	v_add_f64 v[6:7], v[34:35], v[6:7]
	v_fma_f64 v[34:35], s[16:17], v[26:27], v[32:33]
	v_add_f64 v[28:29], v[50:51], -v[28:29]
	v_add_f64 v[34:35], v[34:35], v[38:39]
	v_mul_f64 v[38:39], v[30:31], s[16:17]
	v_fma_f64 v[50:51], s[24:25], v[28:29], v[38:39]
	v_fma_f64 v[32:33], v[26:27], s[16:17], -v[32:33]
	v_fmac_f64_e32 v[38:39], s[4:5], v[28:29]
	v_add_f64 v[32:33], v[32:33], v[36:37]
	v_add_f64 v[36:37], v[38:39], v[40:41]
	v_mul_f64 v[38:39], v[24:25], s[38:39]
	v_fma_f64 v[40:41], s[36:37], v[26:27], v[38:39]
	v_add_f64 v[40:41], v[40:41], v[44:45]
	v_mul_f64 v[44:45], v[30:31], s[36:37]
	v_add_f64 v[46:47], v[50:51], v[46:47]
	v_fma_f64 v[50:51], s[34:35], v[28:29], v[44:45]
	v_fma_f64 v[38:39], v[26:27], s[36:37], -v[38:39]
	v_fmac_f64_e32 v[44:45], s[38:39], v[28:29]
	v_add_f64 v[38:39], v[38:39], v[42:43]
	v_add_f64 v[42:43], v[44:45], v[48:49]
	v_mul_f64 v[44:45], v[24:25], s[14:15]
	v_fma_f64 v[48:49], s[10:11], v[26:27], v[44:45]
	v_fma_f64 v[44:45], v[26:27], s[10:11], -v[44:45]
	v_add_f64 v[44:45], v[44:45], v[54:55]
	v_mul_f64 v[54:55], v[24:25], s[18:19]
	v_add_f64 v[48:49], v[48:49], v[58:59]
	v_mul_f64 v[52:53], v[30:31], s[10:11]
	v_fma_f64 v[58:59], s[20:21], v[26:27], v[54:55]
	v_fma_f64 v[54:55], v[26:27], s[20:21], -v[54:55]
	v_mul_f64 v[24:25], v[24:25], s[26:27]
	v_add_f64 v[50:51], v[50:51], v[56:57]
	v_fma_f64 v[56:57], s[6:7], v[28:29], v[52:53]
	v_fmac_f64_e32 v[52:53], s[14:15], v[28:29]
	v_add_f64 v[54:55], v[54:55], v[62:63]
	v_fma_f64 v[62:63], s[28:29], v[26:27], v[24:25]
	v_fma_f64 v[24:25], v[26:27], s[28:29], -v[24:25]
	v_add_f64 v[26:27], v[18:19], v[22:23]
	v_add_f64 v[18:19], v[18:19], -v[22:23]
	v_add_f64 v[52:53], v[52:53], v[60:61]
	v_mul_f64 v[60:61], v[30:31], s[20:21]
	v_mul_f64 v[30:31], v[30:31], s[28:29]
	v_add_f64 v[4:5], v[24:25], v[4:5]
	v_add_f64 v[24:25], v[16:17], v[20:21]
	v_add_f64 v[16:17], v[16:17], -v[20:21]
	v_mul_f64 v[20:21], v[18:19], s[26:27]
	v_add_f64 v[56:57], v[56:57], v[64:65]
	v_add_f64 v[58:59], v[58:59], v[66:67]
	v_fma_f64 v[64:65], s[22:23], v[28:29], v[60:61]
	v_fmac_f64_e32 v[60:61], s[18:19], v[28:29]
	v_fma_f64 v[66:67], s[30:31], v[28:29], v[30:31]
	v_fmac_f64_e32 v[30:31], s[26:27], v[28:29]
	v_fma_f64 v[22:23], s[28:29], v[24:25], v[20:21]
	v_mul_f64 v[28:29], v[26:27], s[28:29]
	v_fma_f64 v[20:21], v[24:25], s[28:29], -v[20:21]
	v_add_f64 v[6:7], v[30:31], v[6:7]
	v_fma_f64 v[30:31], s[30:31], v[16:17], v[28:29]
	v_add_f64 v[20:21], v[20:21], v[32:33]
	v_fmac_f64_e32 v[28:29], s[26:27], v[16:17]
	v_mul_f64 v[32:33], v[18:19], s[24:25]
	v_add_f64 v[22:23], v[22:23], v[34:35]
	v_add_f64 v[28:29], v[28:29], v[36:37]
	v_fma_f64 v[34:35], s[16:17], v[24:25], v[32:33]
	v_mul_f64 v[36:37], v[26:27], s[16:17]
	v_fma_f64 v[32:33], v[24:25], s[16:17], -v[32:33]
	v_add_f64 v[34:35], v[34:35], v[40:41]
	v_fma_f64 v[40:41], s[4:5], v[16:17], v[36:37]
	v_add_f64 v[32:33], v[32:33], v[38:39]
	v_fmac_f64_e32 v[36:37], s[24:25], v[16:17]
	v_mul_f64 v[38:39], v[18:19], s[18:19]
	v_add_f64 v[30:31], v[30:31], v[46:47]
	v_add_f64 v[36:37], v[36:37], v[42:43]
	v_fma_f64 v[42:43], s[20:21], v[24:25], v[38:39]
	v_mul_f64 v[46:47], v[26:27], s[20:21]
	v_add_f64 v[42:43], v[42:43], v[48:49]
	v_fma_f64 v[48:49], s[22:23], v[16:17], v[46:47]
	v_fma_f64 v[38:39], v[24:25], s[20:21], -v[38:39]
	v_fmac_f64_e32 v[46:47], s[18:19], v[16:17]
	v_add_f64 v[38:39], v[38:39], v[44:45]
	v_add_f64 v[44:45], v[46:47], v[52:53]
	v_mul_f64 v[46:47], v[18:19], s[34:35]
	v_add_f64 v[72:73], v[72:73], v[76:77]
	v_add_f64 v[70:71], v[70:71], v[78:79]
	;; [unrolled: 1-line block ×4, first 2 shown]
	v_fma_f64 v[50:51], s[36:37], v[24:25], v[46:47]
	v_mul_f64 v[52:53], v[26:27], s[36:37]
	v_mul_f64 v[26:27], v[26:27], s[10:11]
	v_add_f64 v[64:65], v[64:65], v[72:73]
	v_add_f64 v[62:63], v[62:63], v[70:71]
	v_add_f64 v[66:67], v[66:67], v[74:75]
	v_add_f64 v[48:49], v[48:49], v[56:57]
	v_add_f64 v[50:51], v[50:51], v[58:59]
	v_fma_f64 v[56:57], s[38:39], v[16:17], v[52:53]
	v_fma_f64 v[46:47], v[24:25], s[36:37], -v[46:47]
	v_mul_f64 v[18:19], v[18:19], s[14:15]
	v_fma_f64 v[58:59], s[6:7], v[16:17], v[26:27]
	v_add_f64 v[70:71], v[10:11], -v[14:15]
	v_add_f64 v[60:61], v[60:61], v[68:69]
	v_add_f64 v[56:57], v[56:57], v[64:65]
	;; [unrolled: 1-line block ×3, first 2 shown]
	v_fmac_f64_e32 v[52:53], s[34:35], v[16:17]
	v_fma_f64 v[54:55], s[10:11], v[24:25], v[18:19]
	v_add_f64 v[58:59], v[58:59], v[66:67]
	v_fma_f64 v[18:19], v[24:25], s[10:11], -v[18:19]
	v_add_f64 v[64:65], v[8:9], v[12:13]
	v_add_f64 v[66:67], v[10:11], v[14:15]
	v_add_f64 v[68:69], v[8:9], -v[12:13]
	v_mul_f64 v[8:9], v[70:71], s[34:35]
	v_add_f64 v[52:53], v[52:53], v[60:61]
	v_add_f64 v[60:61], v[18:19], v[4:5]
	v_fmac_f64_e32 v[26:27], s[14:15], v[16:17]
	v_fma_f64 v[4:5], s[36:37], v[64:65], v[8:9]
	v_fma_f64 v[8:9], v[64:65], s[36:37], -v[8:9]
	v_mul_f64 v[16:17], v[70:71], s[22:23]
	v_mul_f64 v[18:19], v[66:67], s[20:21]
	;; [unrolled: 1-line block ×4, first 2 shown]
	v_add_f64 v[8:9], v[8:9], v[20:21]
	v_fma_f64 v[12:13], s[20:21], v[64:65], v[16:17]
	v_fma_f64 v[14:15], s[18:19], v[68:69], v[18:19]
	v_fma_f64 v[16:17], v[64:65], s[20:21], -v[16:17]
	v_fma_f64 v[20:21], s[28:29], v[64:65], v[24:25]
	v_add_f64 v[54:55], v[54:55], v[62:63]
	v_add_f64 v[62:63], v[26:27], v[6:7]
	v_fma_f64 v[6:7], s[38:39], v[68:69], v[10:11]
	v_fmac_f64_e32 v[10:11], s[34:35], v[68:69]
	v_add_f64 v[12:13], v[12:13], v[34:35]
	v_add_f64 v[14:15], v[14:15], v[40:41]
	;; [unrolled: 1-line block ×3, first 2 shown]
	v_fmac_f64_e32 v[18:19], s[22:23], v[68:69]
	v_add_f64 v[20:21], v[20:21], v[42:43]
	v_mul_f64 v[26:27], v[66:67], s[28:29]
	v_fma_f64 v[24:25], v[64:65], s[28:29], -v[24:25]
	v_mul_f64 v[32:33], v[70:71], s[14:15]
	v_mul_f64 v[34:35], v[66:67], s[10:11]
	;; [unrolled: 1-line block ×4, first 2 shown]
	v_add_f64 v[4:5], v[4:5], v[22:23]
	v_add_f64 v[6:7], v[6:7], v[30:31]
	;; [unrolled: 1-line block ×4, first 2 shown]
	v_fma_f64 v[22:23], s[30:31], v[68:69], v[26:27]
	v_add_f64 v[24:25], v[24:25], v[38:39]
	v_fmac_f64_e32 v[26:27], s[26:27], v[68:69]
	v_fma_f64 v[28:29], s[10:11], v[64:65], v[32:33]
	v_fma_f64 v[30:31], s[6:7], v[68:69], v[34:35]
	v_fma_f64 v[32:33], v[64:65], s[10:11], -v[32:33]
	v_fmac_f64_e32 v[34:35], s[14:15], v[68:69]
	v_fma_f64 v[36:37], s[16:17], v[64:65], v[40:41]
	v_fma_f64 v[38:39], s[24:25], v[68:69], v[42:43]
	v_fma_f64 v[40:41], v[64:65], s[16:17], -v[40:41]
	v_fmac_f64_e32 v[42:43], s[4:5], v[68:69]
	v_add_f64 v[22:23], v[22:23], v[48:49]
	v_add_f64 v[26:27], v[26:27], v[44:45]
	;; [unrolled: 1-line block ×10, first 2 shown]
	ds_write_b128 v170, v[0:3]
	ds_write_b128 v170, v[4:7] offset:208
	ds_write_b128 v170, v[12:15] offset:416
	;; [unrolled: 1-line block ×10, first 2 shown]
	s_waitcnt lgkmcnt(0)
	s_barrier
	s_and_b64 exec, exec, vcc
	s_cbranch_execz .LBB0_15
; %bb.14:
	global_load_dwordx4 v[0:3], v121, s[8:9]
	global_load_dwordx4 v[4:7], v121, s[8:9] offset:176
	global_load_dwordx4 v[8:11], v121, s[8:9] offset:352
	;; [unrolled: 1-line block ×5, first 2 shown]
	ds_read_b128 v[24:27], v170
	ds_read_b128 v[28:31], v170 offset:176
	global_load_dwordx4 v[32:35], v121, s[8:9] offset:1056
	ds_read_b128 v[36:39], v170 offset:352
	ds_read_b128 v[40:43], v170 offset:528
	;; [unrolled: 1-line block ×4, first 2 shown]
	global_load_dwordx4 v[52:55], v121, s[8:9] offset:1232
	global_load_dwordx4 v[56:59], v121, s[8:9] offset:1408
	;; [unrolled: 1-line block ×5, first 2 shown]
	v_mad_u64_u32 v[74:75], s[4:5], s2, v120, 0
	v_mad_u64_u32 v[76:77], s[6:7], s0, v178, 0
	v_mov_b32_e32 v78, v75
	v_mov_b32_e32 v80, v77
	v_mad_u64_u32 v[78:79], s[6:7], s3, v120, v[78:79]
	v_mov_b32_e32 v72, s12
	v_mov_b32_e32 v73, s13
	;; [unrolled: 3-line block ×3, first 2 shown]
	v_lshl_add_u64 v[72:73], v[74:75], 4, v[72:73]
	v_mov_b32_e32 v92, 0xb0
	v_lshl_add_u64 v[72:73], v[76:77], 4, v[72:73]
	s_mul_i32 s2, s1, 0xb0
	v_mad_u64_u32 v[74:75], s[6:7], s0, v92, v[72:73]
	v_add_u32_e32 v75, s2, v75
	v_mad_u64_u32 v[76:77], s[6:7], s0, v92, v[74:75]
	v_add_u32_e32 v77, s2, v77
	s_mov_b32 s4, 0x55ee191
	v_mad_u64_u32 v[78:79], s[6:7], s0, v92, v[76:77]
	s_mov_b32 s5, 0x3f7ca4b3
	v_add_u32_e32 v79, s2, v79
	v_mad_u64_u32 v[80:81], s[6:7], s0, v92, v[78:79]
	v_add_u32_e32 v81, s2, v81
	s_waitcnt vmcnt(11) lgkmcnt(5)
	v_mul_f64 v[82:83], v[26:27], v[2:3]
	v_mul_f64 v[2:3], v[24:25], v[2:3]
	s_waitcnt vmcnt(10) lgkmcnt(4)
	v_mul_f64 v[84:85], v[30:31], v[6:7]
	v_mul_f64 v[6:7], v[28:29], v[6:7]
	;; [unrolled: 3-line block ×5, first 2 shown]
	v_fmac_f64_e32 v[82:83], v[24:25], v[0:1]
	v_fma_f64 v[2:3], v[0:1], v[26:27], -v[2:3]
	v_fmac_f64_e32 v[84:85], v[28:29], v[4:5]
	v_fma_f64 v[6:7], v[4:5], v[30:31], -v[6:7]
	;; [unrolled: 2-line block ×5, first 2 shown]
	v_mul_f64 v[0:1], v[82:83], s[4:5]
	v_mul_f64 v[2:3], v[2:3], s[4:5]
	;; [unrolled: 1-line block ×10, first 2 shown]
	global_store_dwordx4 v[72:73], v[0:3], off
	global_store_dwordx4 v[74:75], v[4:7], off
	;; [unrolled: 1-line block ×5, first 2 shown]
	s_waitcnt vmcnt(11) lgkmcnt(0)
	v_mul_f64 v[0:1], v[50:51], v[22:23]
	v_mul_f64 v[2:3], v[48:49], v[22:23]
	ds_read_b128 v[4:7], v170 offset:1056
	v_fmac_f64_e32 v[0:1], v[48:49], v[20:21]
	v_fma_f64 v[2:3], v[20:21], v[50:51], -v[2:3]
	v_mad_u64_u32 v[12:13], s[6:7], s0, v92, v[80:81]
	v_mul_f64 v[0:1], v[0:1], s[4:5]
	v_mul_f64 v[2:3], v[2:3], s[4:5]
	v_add_u32_e32 v13, s2, v13
	global_store_dwordx4 v[12:13], v[0:3], off
	ds_read_b128 v[0:3], v170 offset:1232
	s_waitcnt vmcnt(11) lgkmcnt(1)
	v_mul_f64 v[8:9], v[6:7], v[34:35]
	v_fmac_f64_e32 v[8:9], v[4:5], v[32:33]
	v_mul_f64 v[4:5], v[4:5], v[34:35]
	v_fma_f64 v[4:5], v[32:33], v[6:7], -v[4:5]
	v_mul_f64 v[10:11], v[4:5], s[4:5]
	s_waitcnt vmcnt(10) lgkmcnt(0)
	v_mul_f64 v[4:5], v[2:3], v[54:55]
	v_fmac_f64_e32 v[4:5], v[0:1], v[52:53]
	v_mul_f64 v[0:1], v[0:1], v[54:55]
	v_mad_u64_u32 v[12:13], s[6:7], s0, v92, v[12:13]
	v_fma_f64 v[0:1], v[52:53], v[2:3], -v[0:1]
	v_mul_f64 v[8:9], v[8:9], s[4:5]
	v_add_u32_e32 v13, s2, v13
	v_mul_f64 v[6:7], v[0:1], s[4:5]
	ds_read_b128 v[0:3], v170 offset:1408
	global_store_dwordx4 v[12:13], v[8:11], off
	v_mad_u64_u32 v[12:13], s[6:7], s0, v92, v[12:13]
	v_mul_f64 v[4:5], v[4:5], s[4:5]
	v_add_u32_e32 v13, s2, v13
	global_store_dwordx4 v[12:13], v[4:7], off
	ds_read_b128 v[4:7], v170 offset:1584
	s_waitcnt vmcnt(11) lgkmcnt(1)
	v_mul_f64 v[8:9], v[2:3], v[58:59]
	v_fmac_f64_e32 v[8:9], v[0:1], v[56:57]
	v_mul_f64 v[0:1], v[0:1], v[58:59]
	v_fma_f64 v[0:1], v[56:57], v[2:3], -v[0:1]
	v_mul_f64 v[10:11], v[0:1], s[4:5]
	v_mad_u64_u32 v[12:13], s[6:7], s0, v92, v[12:13]
	s_waitcnt vmcnt(10) lgkmcnt(0)
	v_mul_f64 v[0:1], v[6:7], v[62:63]
	v_mul_f64 v[2:3], v[4:5], v[62:63]
	;; [unrolled: 1-line block ×3, first 2 shown]
	v_add_u32_e32 v13, s2, v13
	v_fmac_f64_e32 v[0:1], v[4:5], v[60:61]
	v_fma_f64 v[2:3], v[60:61], v[6:7], -v[2:3]
	ds_read_b128 v[4:7], v170 offset:1760
	global_store_dwordx4 v[12:13], v[8:11], off
	v_mad_u64_u32 v[12:13], s[6:7], s0, v92, v[12:13]
	v_mul_f64 v[0:1], v[0:1], s[4:5]
	v_mul_f64 v[2:3], v[2:3], s[4:5]
	v_add_u32_e32 v13, s2, v13
	global_store_dwordx4 v[12:13], v[0:3], off
	ds_read_b128 v[0:3], v170 offset:1936
	s_waitcnt vmcnt(11) lgkmcnt(1)
	v_mul_f64 v[8:9], v[6:7], v[66:67]
	v_fmac_f64_e32 v[8:9], v[4:5], v[64:65]
	v_mul_f64 v[4:5], v[4:5], v[66:67]
	v_fma_f64 v[4:5], v[64:65], v[6:7], -v[4:5]
	v_mul_f64 v[10:11], v[4:5], s[4:5]
	v_mad_u64_u32 v[12:13], s[6:7], s0, v92, v[12:13]
	s_waitcnt vmcnt(10) lgkmcnt(0)
	v_mul_f64 v[4:5], v[2:3], v[70:71]
	v_mul_f64 v[8:9], v[8:9], s[4:5]
	v_add_u32_e32 v13, s2, v13
	v_fmac_f64_e32 v[4:5], v[0:1], v[68:69]
	v_mul_f64 v[0:1], v[0:1], v[70:71]
	global_store_dwordx4 v[12:13], v[8:11], off
	v_fma_f64 v[0:1], v[68:69], v[2:3], -v[0:1]
	v_mul_f64 v[4:5], v[4:5], s[4:5]
	v_mad_u64_u32 v[8:9], s[6:7], s0, v92, v[12:13]
	v_mul_f64 v[6:7], v[0:1], s[4:5]
	v_add_u32_e32 v9, s2, v9
	global_store_dwordx4 v[8:9], v[4:7], off
	global_load_dwordx4 v[0:3], v121, s[8:9] offset:2112
	ds_read_b128 v[4:7], v170 offset:2112
	s_waitcnt vmcnt(0) lgkmcnt(0)
	v_mul_f64 v[10:11], v[6:7], v[2:3]
	v_mul_f64 v[12:13], v[4:5], v[2:3]
	v_fmac_f64_e32 v[10:11], v[4:5], v[0:1]
	v_fma_f64 v[0:1], v[0:1], v[6:7], -v[12:13]
	v_mul_f64 v[4:5], v[0:1], s[4:5]
	v_mad_u64_u32 v[0:1], s[0:1], s0, v92, v[8:9]
	v_mul_f64 v[2:3], v[10:11], s[4:5]
	v_add_u32_e32 v1, s2, v1
	global_store_dwordx4 v[0:1], v[2:5], off
.LBB0_15:
	s_endpgm
	.section	.rodata,"a",@progbits
	.p2align	6, 0x0
	.amdhsa_kernel bluestein_single_back_len143_dim1_dp_op_CI_CI
		.amdhsa_group_segment_fixed_size 32032
		.amdhsa_private_segment_fixed_size 0
		.amdhsa_kernarg_size 104
		.amdhsa_user_sgpr_count 2
		.amdhsa_user_sgpr_dispatch_ptr 0
		.amdhsa_user_sgpr_queue_ptr 0
		.amdhsa_user_sgpr_kernarg_segment_ptr 1
		.amdhsa_user_sgpr_dispatch_id 0
		.amdhsa_user_sgpr_kernarg_preload_length 0
		.amdhsa_user_sgpr_kernarg_preload_offset 0
		.amdhsa_user_sgpr_private_segment_size 0
		.amdhsa_uses_dynamic_stack 0
		.amdhsa_enable_private_segment 0
		.amdhsa_system_sgpr_workgroup_id_x 1
		.amdhsa_system_sgpr_workgroup_id_y 0
		.amdhsa_system_sgpr_workgroup_id_z 0
		.amdhsa_system_sgpr_workgroup_info 0
		.amdhsa_system_vgpr_workitem_id 0
		.amdhsa_next_free_vgpr 218
		.amdhsa_next_free_sgpr 48
		.amdhsa_accum_offset 220
		.amdhsa_reserve_vcc 1
		.amdhsa_float_round_mode_32 0
		.amdhsa_float_round_mode_16_64 0
		.amdhsa_float_denorm_mode_32 3
		.amdhsa_float_denorm_mode_16_64 3
		.amdhsa_dx10_clamp 1
		.amdhsa_ieee_mode 1
		.amdhsa_fp16_overflow 0
		.amdhsa_tg_split 0
		.amdhsa_exception_fp_ieee_invalid_op 0
		.amdhsa_exception_fp_denorm_src 0
		.amdhsa_exception_fp_ieee_div_zero 0
		.amdhsa_exception_fp_ieee_overflow 0
		.amdhsa_exception_fp_ieee_underflow 0
		.amdhsa_exception_fp_ieee_inexact 0
		.amdhsa_exception_int_div_zero 0
	.end_amdhsa_kernel
	.text
.Lfunc_end0:
	.size	bluestein_single_back_len143_dim1_dp_op_CI_CI, .Lfunc_end0-bluestein_single_back_len143_dim1_dp_op_CI_CI
                                        ; -- End function
	.section	.AMDGPU.csdata,"",@progbits
; Kernel info:
; codeLenInByte = 16576
; NumSgprs: 54
; NumVgprs: 218
; NumAgprs: 0
; TotalNumVgprs: 218
; ScratchSize: 0
; MemoryBound: 0
; FloatMode: 240
; IeeeMode: 1
; LDSByteSize: 32032 bytes/workgroup (compile time only)
; SGPRBlocks: 6
; VGPRBlocks: 27
; NumSGPRsForWavesPerEU: 54
; NumVGPRsForWavesPerEU: 218
; AccumOffset: 220
; Occupancy: 2
; WaveLimiterHint : 1
; COMPUTE_PGM_RSRC2:SCRATCH_EN: 0
; COMPUTE_PGM_RSRC2:USER_SGPR: 2
; COMPUTE_PGM_RSRC2:TRAP_HANDLER: 0
; COMPUTE_PGM_RSRC2:TGID_X_EN: 1
; COMPUTE_PGM_RSRC2:TGID_Y_EN: 0
; COMPUTE_PGM_RSRC2:TGID_Z_EN: 0
; COMPUTE_PGM_RSRC2:TIDIG_COMP_CNT: 0
; COMPUTE_PGM_RSRC3_GFX90A:ACCUM_OFFSET: 54
; COMPUTE_PGM_RSRC3_GFX90A:TG_SPLIT: 0
	.text
	.p2alignl 6, 3212836864
	.fill 256, 4, 3212836864
	.type	__hip_cuid_dd6fc61b90b01b44,@object ; @__hip_cuid_dd6fc61b90b01b44
	.section	.bss,"aw",@nobits
	.globl	__hip_cuid_dd6fc61b90b01b44
__hip_cuid_dd6fc61b90b01b44:
	.byte	0                               ; 0x0
	.size	__hip_cuid_dd6fc61b90b01b44, 1

	.ident	"AMD clang version 19.0.0git (https://github.com/RadeonOpenCompute/llvm-project roc-6.4.0 25133 c7fe45cf4b819c5991fe208aaa96edf142730f1d)"
	.section	".note.GNU-stack","",@progbits
	.addrsig
	.addrsig_sym __hip_cuid_dd6fc61b90b01b44
	.amdgpu_metadata
---
amdhsa.kernels:
  - .agpr_count:     0
    .args:
      - .actual_access:  read_only
        .address_space:  global
        .offset:         0
        .size:           8
        .value_kind:     global_buffer
      - .actual_access:  read_only
        .address_space:  global
        .offset:         8
        .size:           8
        .value_kind:     global_buffer
      - .actual_access:  read_only
        .address_space:  global
        .offset:         16
        .size:           8
        .value_kind:     global_buffer
      - .actual_access:  read_only
        .address_space:  global
        .offset:         24
        .size:           8
        .value_kind:     global_buffer
      - .actual_access:  read_only
        .address_space:  global
        .offset:         32
        .size:           8
        .value_kind:     global_buffer
      - .offset:         40
        .size:           8
        .value_kind:     by_value
      - .address_space:  global
        .offset:         48
        .size:           8
        .value_kind:     global_buffer
      - .address_space:  global
        .offset:         56
        .size:           8
        .value_kind:     global_buffer
      - .address_space:  global
        .offset:         64
        .size:           8
        .value_kind:     global_buffer
      - .address_space:  global
        .offset:         72
        .size:           8
        .value_kind:     global_buffer
      - .offset:         80
        .size:           4
        .value_kind:     by_value
      - .address_space:  global
        .offset:         88
        .size:           8
        .value_kind:     global_buffer
      - .address_space:  global
        .offset:         96
        .size:           8
        .value_kind:     global_buffer
    .group_segment_fixed_size: 32032
    .kernarg_segment_align: 8
    .kernarg_segment_size: 104
    .language:       OpenCL C
    .language_version:
      - 2
      - 0
    .max_flat_workgroup_size: 182
    .name:           bluestein_single_back_len143_dim1_dp_op_CI_CI
    .private_segment_fixed_size: 0
    .sgpr_count:     54
    .sgpr_spill_count: 0
    .symbol:         bluestein_single_back_len143_dim1_dp_op_CI_CI.kd
    .uniform_work_group_size: 1
    .uses_dynamic_stack: false
    .vgpr_count:     218
    .vgpr_spill_count: 0
    .wavefront_size: 64
amdhsa.target:   amdgcn-amd-amdhsa--gfx950
amdhsa.version:
  - 1
  - 2
...

	.end_amdgpu_metadata
